;; amdgpu-corpus repo=ROCm/rocFFT kind=compiled arch=gfx906 opt=O3
	.text
	.amdgcn_target "amdgcn-amd-amdhsa--gfx906"
	.amdhsa_code_object_version 6
	.protected	fft_rtc_back_len150_factors_10_5_3_wgs_60_tpt_5_halfLds_sp_op_CI_CI_unitstride_sbrr_R2C_dirReg ; -- Begin function fft_rtc_back_len150_factors_10_5_3_wgs_60_tpt_5_halfLds_sp_op_CI_CI_unitstride_sbrr_R2C_dirReg
	.globl	fft_rtc_back_len150_factors_10_5_3_wgs_60_tpt_5_halfLds_sp_op_CI_CI_unitstride_sbrr_R2C_dirReg
	.p2align	8
	.type	fft_rtc_back_len150_factors_10_5_3_wgs_60_tpt_5_halfLds_sp_op_CI_CI_unitstride_sbrr_R2C_dirReg,@function
fft_rtc_back_len150_factors_10_5_3_wgs_60_tpt_5_halfLds_sp_op_CI_CI_unitstride_sbrr_R2C_dirReg: ; @fft_rtc_back_len150_factors_10_5_3_wgs_60_tpt_5_halfLds_sp_op_CI_CI_unitstride_sbrr_R2C_dirReg
; %bb.0:
	s_load_dwordx4 s[8:11], s[4:5], 0x58
	s_load_dwordx4 s[12:15], s[4:5], 0x0
	;; [unrolled: 1-line block ×3, first 2 shown]
	v_mul_u32_u24_e32 v1, 0x3334, v0
	v_lshrrev_b32_e32 v1, 16, v1
	v_mad_u64_u32 v[3:4], s[0:1], s6, 12, v[1:2]
	v_mov_b32_e32 v5, 0
	v_mov_b32_e32 v1, 0
	;; [unrolled: 1-line block ×3, first 2 shown]
	s_waitcnt lgkmcnt(0)
	v_cmp_lt_u64_e64 s[0:1], s[14:15], 2
	v_mov_b32_e32 v2, 0
	v_mov_b32_e32 v57, v2
	;; [unrolled: 1-line block ×3, first 2 shown]
	s_and_b64 vcc, exec, s[0:1]
	v_mov_b32_e32 v56, v1
	v_mov_b32_e32 v62, v3
	s_cbranch_vccnz .LBB0_8
; %bb.1:
	s_load_dwordx2 s[0:1], s[4:5], 0x10
	s_add_u32 s2, s18, 8
	s_addc_u32 s3, s19, 0
	s_add_u32 s6, s16, 8
	v_mov_b32_e32 v1, 0
	s_addc_u32 s7, s17, 0
	v_mov_b32_e32 v2, 0
	s_waitcnt lgkmcnt(0)
	s_add_u32 s20, s0, 8
	v_mov_b32_e32 v57, v2
	v_mov_b32_e32 v8, v4
	s_addc_u32 s21, s1, 0
	s_mov_b64 s[22:23], 1
	v_mov_b32_e32 v56, v1
	v_mov_b32_e32 v7, v3
.LBB0_2:                                ; =>This Inner Loop Header: Depth=1
	s_load_dwordx2 s[24:25], s[20:21], 0x0
                                        ; implicit-def: $vgpr62_vgpr63
	s_waitcnt lgkmcnt(0)
	v_or_b32_e32 v6, s25, v8
	v_cmp_ne_u64_e32 vcc, 0, v[5:6]
	s_and_saveexec_b64 s[0:1], vcc
	s_xor_b64 s[26:27], exec, s[0:1]
	s_cbranch_execz .LBB0_4
; %bb.3:                                ;   in Loop: Header=BB0_2 Depth=1
	v_cvt_f32_u32_e32 v4, s24
	v_cvt_f32_u32_e32 v6, s25
	s_sub_u32 s0, 0, s24
	s_subb_u32 s1, 0, s25
	v_mac_f32_e32 v4, 0x4f800000, v6
	v_rcp_f32_e32 v4, v4
	v_mul_f32_e32 v4, 0x5f7ffffc, v4
	v_mul_f32_e32 v6, 0x2f800000, v4
	v_trunc_f32_e32 v6, v6
	v_mac_f32_e32 v4, 0xcf800000, v6
	v_cvt_u32_f32_e32 v6, v6
	v_cvt_u32_f32_e32 v4, v4
	v_mul_lo_u32 v9, s0, v6
	v_mul_hi_u32 v10, s0, v4
	v_mul_lo_u32 v12, s1, v4
	v_mul_lo_u32 v11, s0, v4
	v_add_u32_e32 v9, v10, v9
	v_add_u32_e32 v9, v9, v12
	v_mul_hi_u32 v10, v4, v11
	v_mul_lo_u32 v12, v4, v9
	v_mul_hi_u32 v14, v4, v9
	v_mul_hi_u32 v13, v6, v11
	v_mul_lo_u32 v11, v6, v11
	v_mul_hi_u32 v15, v6, v9
	v_add_co_u32_e32 v10, vcc, v10, v12
	v_addc_co_u32_e32 v12, vcc, 0, v14, vcc
	v_mul_lo_u32 v9, v6, v9
	v_add_co_u32_e32 v10, vcc, v10, v11
	v_addc_co_u32_e32 v10, vcc, v12, v13, vcc
	v_addc_co_u32_e32 v11, vcc, 0, v15, vcc
	v_add_co_u32_e32 v9, vcc, v10, v9
	v_addc_co_u32_e32 v10, vcc, 0, v11, vcc
	v_add_co_u32_e32 v4, vcc, v4, v9
	v_addc_co_u32_e32 v6, vcc, v6, v10, vcc
	v_mul_lo_u32 v9, s0, v6
	v_mul_hi_u32 v10, s0, v4
	v_mul_lo_u32 v11, s1, v4
	v_mul_lo_u32 v12, s0, v4
	v_add_u32_e32 v9, v10, v9
	v_add_u32_e32 v9, v9, v11
	v_mul_lo_u32 v13, v4, v9
	v_mul_hi_u32 v14, v4, v12
	v_mul_hi_u32 v15, v4, v9
	;; [unrolled: 1-line block ×3, first 2 shown]
	v_mul_lo_u32 v12, v6, v12
	v_mul_hi_u32 v10, v6, v9
	v_add_co_u32_e32 v13, vcc, v14, v13
	v_addc_co_u32_e32 v14, vcc, 0, v15, vcc
	v_mul_lo_u32 v9, v6, v9
	v_add_co_u32_e32 v12, vcc, v13, v12
	v_addc_co_u32_e32 v11, vcc, v14, v11, vcc
	v_addc_co_u32_e32 v10, vcc, 0, v10, vcc
	v_add_co_u32_e32 v9, vcc, v11, v9
	v_addc_co_u32_e32 v10, vcc, 0, v10, vcc
	v_add_co_u32_e32 v4, vcc, v4, v9
	v_addc_co_u32_e32 v6, vcc, v6, v10, vcc
	v_mad_u64_u32 v[9:10], s[0:1], v7, v6, 0
	v_mul_hi_u32 v11, v7, v4
	v_add_co_u32_e32 v13, vcc, v11, v9
	v_addc_co_u32_e32 v14, vcc, 0, v10, vcc
	v_mad_u64_u32 v[9:10], s[0:1], v8, v4, 0
	v_mad_u64_u32 v[11:12], s[0:1], v8, v6, 0
	v_add_co_u32_e32 v4, vcc, v13, v9
	v_addc_co_u32_e32 v4, vcc, v14, v10, vcc
	v_addc_co_u32_e32 v6, vcc, 0, v12, vcc
	v_add_co_u32_e32 v4, vcc, v4, v11
	v_addc_co_u32_e32 v6, vcc, 0, v6, vcc
	v_mul_lo_u32 v11, s25, v4
	v_mul_lo_u32 v12, s24, v6
	v_mad_u64_u32 v[9:10], s[0:1], s24, v4, 0
	v_add3_u32 v10, v10, v12, v11
	v_sub_u32_e32 v11, v8, v10
	v_mov_b32_e32 v12, s25
	v_sub_co_u32_e32 v9, vcc, v7, v9
	v_subb_co_u32_e64 v11, s[0:1], v11, v12, vcc
	v_subrev_co_u32_e64 v12, s[0:1], s24, v9
	v_subbrev_co_u32_e64 v11, s[0:1], 0, v11, s[0:1]
	v_cmp_le_u32_e64 s[0:1], s25, v11
	v_cndmask_b32_e64 v13, 0, -1, s[0:1]
	v_cmp_le_u32_e64 s[0:1], s24, v12
	v_cndmask_b32_e64 v12, 0, -1, s[0:1]
	v_cmp_eq_u32_e64 s[0:1], s25, v11
	v_cndmask_b32_e64 v11, v13, v12, s[0:1]
	v_add_co_u32_e64 v12, s[0:1], 2, v4
	v_addc_co_u32_e64 v13, s[0:1], 0, v6, s[0:1]
	v_add_co_u32_e64 v14, s[0:1], 1, v4
	v_addc_co_u32_e64 v15, s[0:1], 0, v6, s[0:1]
	v_subb_co_u32_e32 v10, vcc, v8, v10, vcc
	v_cmp_ne_u32_e64 s[0:1], 0, v11
	v_cmp_le_u32_e32 vcc, s25, v10
	v_cndmask_b32_e64 v11, v15, v13, s[0:1]
	v_cndmask_b32_e64 v13, 0, -1, vcc
	v_cmp_le_u32_e32 vcc, s24, v9
	v_cndmask_b32_e64 v9, 0, -1, vcc
	v_cmp_eq_u32_e32 vcc, s25, v10
	v_cndmask_b32_e32 v9, v13, v9, vcc
	v_cmp_ne_u32_e32 vcc, 0, v9
	v_cndmask_b32_e32 v63, v6, v11, vcc
	v_cndmask_b32_e64 v6, v14, v12, s[0:1]
	v_cndmask_b32_e32 v62, v4, v6, vcc
.LBB0_4:                                ;   in Loop: Header=BB0_2 Depth=1
	s_andn2_saveexec_b64 s[0:1], s[26:27]
	s_cbranch_execz .LBB0_6
; %bb.5:                                ;   in Loop: Header=BB0_2 Depth=1
	v_cvt_f32_u32_e32 v4, s24
	s_sub_i32 s26, 0, s24
	v_mov_b32_e32 v63, v5
	v_rcp_iflag_f32_e32 v4, v4
	v_mul_f32_e32 v4, 0x4f7ffffe, v4
	v_cvt_u32_f32_e32 v4, v4
	v_mul_lo_u32 v6, s26, v4
	v_mul_hi_u32 v6, v4, v6
	v_add_u32_e32 v4, v4, v6
	v_mul_hi_u32 v4, v7, v4
	v_mul_lo_u32 v6, v4, s24
	v_add_u32_e32 v9, 1, v4
	v_sub_u32_e32 v6, v7, v6
	v_subrev_u32_e32 v10, s24, v6
	v_cmp_le_u32_e32 vcc, s24, v6
	v_cndmask_b32_e32 v6, v6, v10, vcc
	v_cndmask_b32_e32 v4, v4, v9, vcc
	v_add_u32_e32 v9, 1, v4
	v_cmp_le_u32_e32 vcc, s24, v6
	v_cndmask_b32_e32 v62, v4, v9, vcc
.LBB0_6:                                ;   in Loop: Header=BB0_2 Depth=1
	s_or_b64 exec, exec, s[0:1]
	v_mul_lo_u32 v4, v63, s24
	v_mul_lo_u32 v6, v62, s25
	v_mad_u64_u32 v[9:10], s[0:1], v62, s24, 0
	s_load_dwordx2 s[0:1], s[6:7], 0x0
	s_load_dwordx2 s[24:25], s[2:3], 0x0
	v_add3_u32 v4, v10, v6, v4
	v_sub_co_u32_e32 v6, vcc, v7, v9
	v_subb_co_u32_e32 v4, vcc, v8, v4, vcc
	s_waitcnt lgkmcnt(0)
	v_mul_lo_u32 v7, s0, v4
	v_mul_lo_u32 v8, s1, v6
	v_mad_u64_u32 v[1:2], s[0:1], s0, v6, v[1:2]
	s_add_u32 s22, s22, 1
	s_addc_u32 s23, s23, 0
	s_add_u32 s2, s2, 8
	v_mul_lo_u32 v4, s24, v4
	v_mul_lo_u32 v9, s25, v6
	v_mad_u64_u32 v[56:57], s[0:1], s24, v6, v[56:57]
	v_add3_u32 v2, v8, v2, v7
	s_addc_u32 s3, s3, 0
	v_mov_b32_e32 v6, s14
	s_add_u32 s6, s6, 8
	v_mov_b32_e32 v7, s15
	s_addc_u32 s7, s7, 0
	v_cmp_ge_u64_e32 vcc, s[22:23], v[6:7]
	s_add_u32 s20, s20, 8
	v_add3_u32 v57, v9, v57, v4
	s_addc_u32 s21, s21, 0
	s_cbranch_vccnz .LBB0_8
; %bb.7:                                ;   in Loop: Header=BB0_2 Depth=1
	v_mov_b32_e32 v7, v62
	v_mov_b32_e32 v8, v63
	s_branch .LBB0_2
.LBB0_8:
	s_mov_b32 s0, 0xaaaaaaab
	v_mul_hi_u32 v4, v3, s0
	s_load_dwordx2 s[0:1], s[4:5], 0x28
	s_lshl_b64 s[6:7], s[14:15], 3
	s_add_u32 s2, s18, s6
	v_lshrrev_b32_e32 v4, 3, v4
	v_mul_lo_u32 v4, v4, 12
	s_waitcnt lgkmcnt(0)
	v_cmp_gt_u64_e32 vcc, s[0:1], v[62:63]
	v_cmp_le_u64_e64 s[0:1], s[0:1], v[62:63]
	s_addc_u32 s3, s19, s7
	v_sub_u32_e32 v3, v3, v4
                                        ; implicit-def: $vgpr58
                                        ; implicit-def: $vgpr60
                                        ; implicit-def: $vgpr71
                                        ; implicit-def: $vgpr67
                                        ; implicit-def: $vgpr66
                                        ; implicit-def: $vgpr65
                                        ; implicit-def: $vgpr73
                                        ; implicit-def: $vgpr64
                                        ; implicit-def: $vgpr69
                                        ; implicit-def: $vgpr68
                                        ; implicit-def: $vgpr70
	s_and_saveexec_b64 s[4:5], s[0:1]
	s_xor_b64 s[0:1], exec, s[4:5]
	s_cbranch_execz .LBB0_10
; %bb.9:
	s_mov_b32 s4, 0x33333334
	v_mul_hi_u32 v1, v0, s4
	v_mul_u32_u24_e32 v1, 5, v1
	v_sub_u32_e32 v58, v0, v1
	v_add_u32_e32 v60, 5, v58
	v_add_u32_e32 v71, 10, v58
	;; [unrolled: 1-line block ×4, first 2 shown]
	v_or_b32_e32 v65, 40, v58
	v_add_u32_e32 v73, 15, v58
	v_add_u32_e32 v64, 45, v58
	;; [unrolled: 1-line block ×3, first 2 shown]
	v_or_b32_e32 v69, 0x50, v58
	v_add_u32_e32 v70, 25, v58
                                        ; implicit-def: $vgpr0
                                        ; implicit-def: $vgpr1_vgpr2
.LBB0_10:
	s_or_saveexec_b64 s[4:5], s[0:1]
	v_mul_u32_u24_e32 v3, 0x97, v3
	v_lshlrev_b32_e32 v16, 3, v3
	s_xor_b64 exec, exec, s[4:5]
	s_cbranch_execz .LBB0_12
; %bb.11:
	s_add_u32 s0, s16, s6
	s_addc_u32 s1, s17, s7
	s_load_dwordx2 s[0:1], s[0:1], 0x0
	s_mov_b32 s6, 0x33333334
	v_mul_hi_u32 v5, v0, s6
	s_waitcnt lgkmcnt(0)
	v_mul_lo_u32 v6, s1, v62
	v_mul_lo_u32 v7, s0, v63
	v_mad_u64_u32 v[3:4], s[0:1], s0, v62, 0
	v_mul_u32_u24_e32 v5, 5, v5
	v_sub_u32_e32 v58, v0, v5
	v_add3_u32 v4, v4, v7, v6
	v_lshlrev_b64 v[3:4], 3, v[3:4]
	v_mov_b32_e32 v0, s9
	v_add_co_u32_e64 v3, s[0:1], s8, v3
	v_addc_co_u32_e64 v4, s[0:1], v0, v4, s[0:1]
	v_lshlrev_b64 v[0:1], 3, v[1:2]
	v_lshlrev_b32_e32 v55, 3, v58
	v_add_co_u32_e64 v0, s[0:1], v3, v0
	v_addc_co_u32_e64 v1, s[0:1], v4, v1, s[0:1]
	v_add_co_u32_e64 v0, s[0:1], v0, v55
	v_addc_co_u32_e64 v1, s[0:1], 0, v1, s[0:1]
	global_load_dwordx2 v[2:3], v[0:1], off
	global_load_dwordx2 v[4:5], v[0:1], off offset:40
	global_load_dwordx2 v[6:7], v[0:1], off offset:80
	;; [unrolled: 1-line block ×29, first 2 shown]
	v_add_u32_e32 v60, 5, v58
	v_add_u32_e32 v71, 10, v58
	;; [unrolled: 1-line block ×7, first 2 shown]
	v_or_b32_e32 v69, 0x50, v58
	v_or_b32_e32 v65, 40, v58
	v_add3_u32 v0, 0, v16, v55
	v_add_u32_e32 v64, 45, v58
	s_waitcnt vmcnt(28)
	ds_write2_b64 v0, v[2:3], v[4:5] offset1:5
	s_waitcnt vmcnt(26)
	ds_write2_b64 v0, v[6:7], v[8:9] offset0:10 offset1:15
	s_waitcnt vmcnt(24)
	ds_write2_b64 v0, v[10:11], v[12:13] offset0:20 offset1:25
	s_waitcnt vmcnt(22)
	ds_write2_b64 v0, v[14:15], v[17:18] offset0:30 offset1:35
	s_waitcnt vmcnt(20)
	ds_write2_b64 v0, v[19:20], v[21:22] offset0:40 offset1:45
	s_waitcnt vmcnt(18)
	ds_write2_b64 v0, v[23:24], v[25:26] offset0:50 offset1:55
	s_waitcnt vmcnt(16)
	ds_write2_b64 v0, v[27:28], v[29:30] offset0:60 offset1:65
	s_waitcnt vmcnt(14)
	ds_write2_b64 v0, v[31:32], v[33:34] offset0:70 offset1:75
	s_waitcnt vmcnt(12)
	ds_write2_b64 v0, v[35:36], v[37:38] offset0:80 offset1:85
	s_waitcnt vmcnt(10)
	ds_write2_b64 v0, v[39:40], v[41:42] offset0:90 offset1:95
	s_waitcnt vmcnt(8)
	ds_write2_b64 v0, v[43:44], v[45:46] offset0:100 offset1:105
	s_waitcnt vmcnt(6)
	ds_write2_b64 v0, v[47:48], v[49:50] offset0:110 offset1:115
	s_waitcnt vmcnt(4)
	ds_write2_b64 v0, v[51:52], v[53:54] offset0:120 offset1:125
	s_waitcnt vmcnt(2)
	ds_write2_b64 v0, v[74:75], v[76:77] offset0:130 offset1:135
	s_waitcnt vmcnt(0)
	ds_write2_b64 v0, v[78:79], v[80:81] offset0:140 offset1:145
.LBB0_12:
	s_or_b64 exec, exec, s[4:5]
	v_lshlrev_b32_e32 v59, 3, v58
	v_add_u32_e32 v78, 0, v16
	v_add3_u32 v61, 0, v59, v16
	v_add_u32_e32 v79, v78, v59
	s_load_dwordx2 s[2:3], s[2:3], 0x0
	s_waitcnt lgkmcnt(0)
	; wave barrier
	s_waitcnt lgkmcnt(0)
	ds_read2_b64 v[0:3], v61 offset0:25 offset1:30
	ds_read2_b64 v[4:7], v61 offset0:55 offset1:60
	;; [unrolled: 1-line block ×8, first 2 shown]
	ds_read_b64 v[76:77], v79
	ds_read_b64 v[74:75], v61 offset:1160
	s_waitcnt lgkmcnt(8)
	v_sub_f32_e32 v17, v2, v6
	s_waitcnt lgkmcnt(6)
	v_sub_f32_e32 v98, v2, v10
	v_sub_f32_e32 v100, v6, v14
	s_waitcnt lgkmcnt(1)
	v_add_f32_e32 v16, v76, v2
	v_add_f32_e32 v16, v16, v6
	;; [unrolled: 1-line block ×5, first 2 shown]
	v_fma_f32 v91, -0.5, v16, v76
	v_add_f32_e32 v16, v77, v3
	v_add_f32_e32 v16, v16, v7
	;; [unrolled: 1-line block ×3, first 2 shown]
	v_sub_f32_e32 v6, v6, v2
	v_add_f32_e32 v2, v2, v10
	v_sub_f32_e32 v18, v10, v14
	v_add_f32_e32 v99, v16, v11
	v_add_f32_e32 v16, v7, v15
	v_sub_f32_e32 v14, v14, v10
	v_fma_f32 v10, -0.5, v2, v76
	v_add_f32_e32 v2, v3, v11
	v_fma_f32 v92, -0.5, v16, v77
	v_fmac_f32_e32 v77, -0.5, v2
	v_add_f32_e32 v72, v17, v18
	v_sub_f32_e32 v17, v3, v7
	v_sub_f32_e32 v18, v11, v15
	ds_read2_b64 v[28:31], v61 offset0:15 offset1:20
	v_sub_f32_e32 v96, v3, v11
	v_sub_f32_e32 v2, v7, v3
	;; [unrolled: 1-line block ×3, first 2 shown]
	v_mov_b32_e32 v11, v77
	v_fmac_f32_e32 v11, 0xbf737871, v100
	v_fmac_f32_e32 v77, 0x3f737871, v100
	v_add_f32_e32 v2, v2, v3
	v_fmac_f32_e32 v11, 0x3f167918, v98
	v_fmac_f32_e32 v77, 0xbf167918, v98
	v_sub_f32_e32 v97, v7, v15
	v_add_f32_e32 v6, v6, v14
	v_mov_b32_e32 v14, v10
	v_fmac_f32_e32 v11, 0x3e9e377a, v2
	v_fmac_f32_e32 v77, 0x3e9e377a, v2
	v_sub_f32_e32 v2, v24, v20
	v_sub_f32_e32 v3, v36, v32
	v_fmac_f32_e32 v14, 0x3f737871, v97
	v_fmac_f32_e32 v10, 0xbf737871, v97
	v_add_f32_e32 v2, v2, v3
	v_add_f32_e32 v3, v20, v32
	v_fmac_f32_e32 v14, 0xbf167918, v96
	v_fmac_f32_e32 v10, 0x3f167918, v96
	s_waitcnt lgkmcnt(0)
	v_fma_f32 v3, -0.5, v3, v28
	v_sub_f32_e32 v86, v25, v37
	v_fmac_f32_e32 v14, 0x3e9e377a, v6
	v_fmac_f32_e32 v10, 0x3e9e377a, v6
	v_mov_b32_e32 v6, v3
	v_sub_f32_e32 v85, v21, v33
	v_fmac_f32_e32 v6, 0x3f737871, v86
	v_fmac_f32_e32 v3, 0xbf737871, v86
	v_fmac_f32_e32 v6, 0xbf167918, v85
	v_fmac_f32_e32 v3, 0x3f167918, v85
	v_fmac_f32_e32 v6, 0x3e9e377a, v2
	v_fmac_f32_e32 v3, 0x3e9e377a, v2
	v_sub_f32_e32 v2, v25, v21
	v_sub_f32_e32 v7, v37, v33
	v_add_f32_e32 v80, v17, v18
	v_sub_f32_e32 v17, v20, v24
	v_sub_f32_e32 v18, v32, v36
	v_add_f32_e32 v2, v2, v7
	v_add_f32_e32 v7, v21, v33
	;; [unrolled: 1-line block ×3, first 2 shown]
	v_sub_f32_e32 v17, v21, v25
	v_sub_f32_e32 v18, v33, v37
	v_fma_f32 v7, -0.5, v7, v29
	v_add_f32_e32 v83, v17, v18
	v_add_f32_e32 v17, v24, v36
	;; [unrolled: 1-line block ×3, first 2 shown]
	v_sub_f32_e32 v88, v24, v36
	v_add_f32_e32 v16, v28, v20
	v_mov_b32_e32 v15, v7
	v_fma_f32 v82, -0.5, v17, v28
	v_fma_f32 v84, -0.5, v18, v29
	v_sub_f32_e32 v87, v20, v32
	v_add_f32_e32 v16, v16, v24
	v_fmac_f32_e32 v15, 0xbf737871, v88
	v_fmac_f32_e32 v7, 0x3f737871, v88
	v_mov_b32_e32 v17, v82
	v_mov_b32_e32 v18, v84
	v_add_f32_e32 v16, v16, v36
	v_fmac_f32_e32 v15, 0x3f167918, v87
	v_fmac_f32_e32 v7, 0xbf167918, v87
	;; [unrolled: 1-line block ×5, first 2 shown]
	v_add_f32_e32 v101, v16, v32
	v_add_f32_e32 v16, v29, v21
	v_fmac_f32_e32 v15, 0x3e9e377a, v2
	v_fmac_f32_e32 v7, 0x3e9e377a, v2
	;; [unrolled: 1-line block ×6, first 2 shown]
	v_mov_b32_e32 v93, v91
	v_mov_b32_e32 v94, v92
	v_add_f32_e32 v16, v16, v25
	v_mul_f32_e32 v20, 0xbf737871, v15
	v_mul_f32_e32 v15, 0x3e9e377a, v15
	;; [unrolled: 1-line block ×4, first 2 shown]
	v_fmac_f32_e32 v91, 0x3f737871, v96
	v_fmac_f32_e32 v92, 0xbf737871, v98
	;; [unrolled: 1-line block ×8, first 2 shown]
	v_add_f32_e32 v16, v16, v37
	v_mul_u32_u24_e32 v107, 10, v58
	v_fmac_f32_e32 v20, 0x3e9e377a, v6
	v_fmac_f32_e32 v15, 0x3f737871, v6
	;; [unrolled: 1-line block ×7, first 2 shown]
	v_mul_f32_e32 v25, 0xbf167918, v84
	v_mul_f32_e32 v28, 0xbf4f1bbd, v84
	;; [unrolled: 1-line block ×4, first 2 shown]
	v_fmac_f32_e32 v93, 0xbf167918, v97
	v_fmac_f32_e32 v94, 0x3f167918, v100
	v_add_f32_e32 v102, v16, v33
	v_lshl_add_u32 v107, v107, 3, v78
	v_add_f32_e32 v2, v14, v20
	v_add_f32_e32 v3, v11, v15
	;; [unrolled: 1-line block ×4, first 2 shown]
	v_fmac_f32_e32 v91, 0x3e9e377a, v72
	v_fmac_f32_e32 v92, 0x3e9e377a, v80
	;; [unrolled: 1-line block ×8, first 2 shown]
	ds_read2_b64 v[16:19], v61 offset0:5 offset1:10
	ds_read2_b64 v[48:51], v61 offset0:35 offset1:40
	ds_read2_b64 v[52:55], v61 offset0:65 offset1:70
	ds_read2_b64 v[44:47], v61 offset0:95 offset1:100
	ds_read2_b64 v[40:43], v61 offset0:125 offset1:130
	s_waitcnt lgkmcnt(0)
	; wave barrier
	s_waitcnt lgkmcnt(0)
	ds_write2_b64 v107, v[2:3], v[6:7] offset0:2 offset1:3
	v_sub_f32_e32 v2, v95, v101
	v_sub_f32_e32 v3, v99, v102
	v_add_f32_e32 v6, v91, v25
	v_add_f32_e32 v7, v92, v28
	ds_write2_b64 v107, v[6:7], v[2:3] offset0:4 offset1:5
	v_sub_f32_e32 v2, v93, v89
	v_sub_f32_e32 v3, v94, v90
	;; [unrolled: 1-line block ×4, first 2 shown]
	ds_write2_b64 v107, v[2:3], v[6:7] offset0:6 offset1:7
	v_sub_f32_e32 v3, v77, v24
	v_sub_f32_e32 v2, v10, v21
	;; [unrolled: 1-line block ×4, first 2 shown]
	ds_write2_b64 v107, v[2:3], v[6:7] offset0:8 offset1:9
	v_add_f32_e32 v2, v30, v22
	v_add_f32_e32 v3, v31, v23
	v_add_f32_e32 v2, v2, v26
	v_add_f32_e32 v3, v3, v27
	v_add_f32_e32 v2, v2, v38
	v_add_f32_e32 v3, v3, v39
	v_add_f32_e32 v14, v27, v39
	v_add_f32_e32 v32, v2, v34
	v_add_f32_e32 v33, v3, v35
	v_sub_f32_e32 v2, v48, v52
	v_sub_f32_e32 v3, v40, v44
	v_add_f32_e32 v6, v26, v38
	v_sub_f32_e32 v10, v27, v39
	v_sub_f32_e32 v7, v22, v26
	;; [unrolled: 1-line block ×6, first 2 shown]
	v_add_f32_e32 v25, v22, v34
	v_sub_f32_e32 v22, v22, v34
	v_sub_f32_e32 v26, v34, v38
	;; [unrolled: 1-line block ×4, first 2 shown]
	v_add_f32_e32 v34, v2, v3
	v_sub_f32_e32 v2, v49, v53
	v_sub_f32_e32 v3, v41, v45
	v_fma_f32 v14, -0.5, v14, v31
	v_sub_f32_e32 v24, v23, v35
	v_add_f32_e32 v23, v23, v35
	v_sub_f32_e32 v29, v39, v35
	v_add_f32_e32 v35, v2, v3
	v_add_f32_e32 v20, v20, v28
	v_fma_f32 v28, -0.5, v6, v30
	v_mov_b32_e32 v3, v14
	v_mov_b32_e32 v2, v28
	v_fmac_f32_e32 v3, 0x3f737871, v22
	v_fmac_f32_e32 v2, 0xbf737871, v24
	;; [unrolled: 1-line block ×3, first 2 shown]
	v_add_f32_e32 v26, v7, v26
	v_fmac_f32_e32 v2, 0xbf167918, v10
	v_fmac_f32_e32 v3, 0x3e9e377a, v20
	;; [unrolled: 1-line block ×3, first 2 shown]
	v_mul_f32_e32 v36, 0xbf167918, v3
	v_fmac_f32_e32 v36, 0x3f4f1bbd, v2
	v_mul_f32_e32 v37, 0x3f167918, v2
	v_add_f32_e32 v2, v16, v48
	v_add_f32_e32 v2, v2, v52
	v_add_f32_e32 v2, v2, v44
	v_add_f32_e32 v38, v2, v40
	v_add_f32_e32 v2, v52, v44
	v_fma_f32 v39, -0.5, v2, v16
	v_add_f32_e32 v2, v17, v49
	v_add_f32_e32 v2, v2, v53
	;; [unrolled: 1-line block ×5, first 2 shown]
	v_fma_f32 v81, -0.5, v2, v17
	v_sub_f32_e32 v72, v49, v41
	v_mov_b32_e32 v76, v39
	v_sub_f32_e32 v82, v48, v40
	v_mov_b32_e32 v83, v81
	v_fmac_f32_e32 v76, 0xbf737871, v72
	v_sub_f32_e32 v77, v53, v45
	v_fmac_f32_e32 v83, 0x3f737871, v82
	v_sub_f32_e32 v84, v52, v44
	v_fmac_f32_e32 v76, 0xbf167918, v77
	v_fmac_f32_e32 v83, 0x3f167918, v84
	;; [unrolled: 1-line block ×5, first 2 shown]
	v_mul_i32_i24_e32 v85, 10, v60
	v_add_f32_e32 v103, v95, v101
	v_add_f32_e32 v104, v99, v102
	;; [unrolled: 1-line block ×8, first 2 shown]
	v_lshl_add_u32 v85, v85, 3, v78
	ds_write2_b64 v107, v[103:104], v[105:106] offset1:1
	ds_write2_b64 v85, v[2:3], v[6:7] offset1:1
	v_fma_f32 v3, -0.5, v25, v30
	v_sub_f32_e32 v7, v52, v48
	v_sub_f32_e32 v25, v44, v40
	v_add_f32_e32 v7, v7, v25
	v_add_f32_e32 v25, v48, v40
	v_fma_f32 v16, -0.5, v25, v16
	v_mov_b32_e32 v25, v16
	v_fmac_f32_e32 v25, 0x3f737871, v77
	v_fmac_f32_e32 v16, 0xbf737871, v77
	;; [unrolled: 1-line block ×4, first 2 shown]
	v_add_f32_e32 v2, v21, v29
	v_fmac_f32_e32 v25, 0x3e9e377a, v7
	v_fmac_f32_e32 v16, 0x3e9e377a, v7
	v_sub_f32_e32 v7, v53, v49
	v_sub_f32_e32 v29, v45, v41
	v_add_f32_e32 v7, v7, v29
	v_add_f32_e32 v29, v49, v41
	v_fma_f32 v17, -0.5, v29, v17
	v_mov_b32_e32 v29, v17
	v_fmac_f32_e32 v31, -0.5, v23
	v_fmac_f32_e32 v29, 0xbf737871, v84
	v_fmac_f32_e32 v17, 0x3f737871, v84
	v_mov_b32_e32 v6, v31
	v_fmac_f32_e32 v29, 0x3f167918, v82
	v_fmac_f32_e32 v17, 0xbf167918, v82
	;; [unrolled: 1-line block ×5, first 2 shown]
	v_add_f32_e32 v7, v11, v27
	v_mov_b32_e32 v11, v3
	v_fmac_f32_e32 v6, 0xbf737871, v15
	v_fmac_f32_e32 v31, 0xbf167918, v22
	;; [unrolled: 1-line block ×12, first 2 shown]
	v_mul_f32_e32 v21, 0xbf737871, v31
	v_mul_f32_e32 v23, 0xbe9e377a, v31
	v_fmac_f32_e32 v11, 0x3e9e377a, v7
	v_fmac_f32_e32 v3, 0x3e9e377a, v7
	v_mul_f32_e32 v27, 0xbf737871, v6
	v_mul_f32_e32 v30, 0x3e9e377a, v6
	v_fmac_f32_e32 v39, 0x3f737871, v72
	v_fmac_f32_e32 v81, 0xbf737871, v82
	;; [unrolled: 1-line block ×11, first 2 shown]
	v_mul_f32_e32 v10, 0xbf167918, v14
	v_mul_f32_e32 v11, 0xbf4f1bbd, v14
	v_add_f32_e32 v2, v25, v27
	v_add_f32_e32 v3, v29, v30
	;; [unrolled: 1-line block ×4, first 2 shown]
	v_fmac_f32_e32 v39, 0x3e9e377a, v34
	v_fmac_f32_e32 v81, 0x3e9e377a, v35
	v_fmac_f32_e32 v10, 0xbf4f1bbd, v28
	v_fmac_f32_e32 v11, 0x3f167918, v28
	ds_write2_b64 v85, v[2:3], v[6:7] offset0:2 offset1:3
	v_sub_f32_e32 v2, v38, v32
	v_sub_f32_e32 v3, v80, v33
	v_add_f32_e32 v6, v39, v10
	v_add_f32_e32 v7, v81, v11
	ds_write2_b64 v85, v[6:7], v[2:3] offset0:4 offset1:5
	v_sub_f32_e32 v2, v76, v36
	v_sub_f32_e32 v3, v83, v37
	;; [unrolled: 1-line block ×4, first 2 shown]
	ds_write2_b64 v85, v[2:3], v[6:7] offset0:6 offset1:7
	v_sub_f32_e32 v2, v16, v21
	v_sub_f32_e32 v3, v17, v23
	;; [unrolled: 1-line block ×4, first 2 shown]
	ds_write2_b64 v85, v[2:3], v[6:7] offset0:8 offset1:9
	v_add_f32_e32 v2, v18, v50
	v_add_f32_e32 v3, v19, v51
	;; [unrolled: 1-line block ×10, first 2 shown]
	v_sub_f32_e32 v10, v50, v54
	v_sub_f32_e32 v24, v42, v46
	v_add_f32_e32 v2, v2, v12
	v_add_f32_e32 v3, v3, v13
	;; [unrolled: 1-line block ×3, first 2 shown]
	v_sub_f32_e32 v32, v4, v12
	v_sub_f32_e32 v33, v12, v4
	v_add_f32_e32 v34, v13, v9
	v_add_f32_e32 v37, v4, v74
	v_sub_f32_e32 v38, v4, v74
	v_sub_f32_e32 v4, v74, v8
	v_add_f32_e32 v2, v2, v8
	v_add_f32_e32 v3, v3, v9
	;; [unrolled: 1-line block ×4, first 2 shown]
	v_fma_f32 v30, -0.5, v30, v0
	v_fma_f32 v32, -0.5, v34, v1
	v_add_f32_e32 v6, v54, v46
	v_add_f32_e32 v14, v55, v47
	v_sub_f32_e32 v36, v5, v75
	v_add_f32_e32 v40, v2, v74
	v_add_f32_e32 v41, v3, v75
	v_mov_b32_e32 v2, v30
	v_mov_b32_e32 v3, v32
	v_sub_f32_e32 v16, v51, v55
	v_add_f32_e32 v21, v50, v42
	v_sub_f32_e32 v22, v50, v42
	v_sub_f32_e32 v25, v46, v42
	;; [unrolled: 1-line block ×7, first 2 shown]
	v_add_f32_e32 v39, v5, v75
	v_sub_f32_e32 v5, v75, v9
	v_fmac_f32_e32 v2, 0xbf737871, v36
	v_fmac_f32_e32 v3, 0x3f737871, v38
	v_fma_f32 v42, -0.5, v6, v18
	v_fma_f32 v14, -0.5, v14, v19
	v_sub_f32_e32 v20, v51, v43
	v_add_f32_e32 v23, v51, v43
	v_sub_f32_e32 v27, v47, v43
	v_add_f32_e32 v16, v16, v26
	v_add_f32_e32 v26, v35, v5
	v_fmac_f32_e32 v2, 0xbf167918, v31
	v_fmac_f32_e32 v3, 0x3f167918, v12
	v_mov_b32_e32 v43, v42
	v_mov_b32_e32 v44, v14
	v_sub_f32_e32 v7, v55, v47
	v_sub_f32_e32 v15, v54, v46
	v_fmac_f32_e32 v2, 0x3e9e377a, v24
	v_fmac_f32_e32 v3, 0x3e9e377a, v26
	;; [unrolled: 1-line block ×4, first 2 shown]
	v_mul_f32_e32 v34, 0xbf167918, v3
	v_mul_f32_e32 v35, 0x3f167918, v2
	v_fmac_f32_e32 v43, 0xbf167918, v7
	v_fmac_f32_e32 v44, 0x3f167918, v15
	;; [unrolled: 1-line block ×6, first 2 shown]
	v_mul_i32_i24_e32 v2, 10, v71
	v_add_f32_e32 v3, v28, v40
	v_add_f32_e32 v4, v29, v41
	v_add_f32_e32 v5, v43, v34
	v_add_f32_e32 v6, v44, v35
	v_lshl_add_u32 v2, v2, 3, v78
	v_fmac_f32_e32 v1, -0.5, v39
	v_sub_f32_e32 v9, v9, v75
	ds_write2_b64 v2, v[3:4], v[5:6] offset1:1
	v_mov_b32_e32 v4, v1
	v_fmac_f32_e32 v1, 0x3f737871, v12
	v_add_f32_e32 v3, v13, v9
	v_fmac_f32_e32 v1, 0xbf167918, v38
	v_sub_f32_e32 v11, v54, v50
	v_fmac_f32_e32 v1, 0x3e9e377a, v3
	v_fma_f32 v9, -0.5, v21, v18
	v_mul_f32_e32 v5, 0xbf737871, v1
	v_mul_f32_e32 v6, 0xbe9e377a, v1
	v_add_f32_e32 v1, v11, v25
	v_mov_b32_e32 v11, v9
	v_fmac_f32_e32 v19, -0.5, v23
	v_fmac_f32_e32 v11, 0x3f737871, v7
	v_fmac_f32_e32 v9, 0xbf737871, v7
	v_mov_b32_e32 v13, v19
	v_sub_f32_e32 v17, v55, v51
	v_fmac_f32_e32 v11, 0xbf167918, v20
	v_fmac_f32_e32 v9, 0x3f167918, v20
	;; [unrolled: 1-line block ×4, first 2 shown]
	v_sub_f32_e32 v8, v8, v74
	v_fma_f32 v0, -0.5, v37, v0
	v_fmac_f32_e32 v11, 0x3e9e377a, v1
	v_fmac_f32_e32 v9, 0x3e9e377a, v1
	v_add_f32_e32 v1, v17, v27
	v_fmac_f32_e32 v13, 0x3f167918, v22
	v_fmac_f32_e32 v19, 0xbf167918, v22
	;; [unrolled: 1-line block ×4, first 2 shown]
	v_add_f32_e32 v1, v33, v8
	v_mov_b32_e32 v8, v0
	v_fmac_f32_e32 v4, 0xbf737871, v12
	v_fmac_f32_e32 v8, 0x3f737871, v31
	;; [unrolled: 1-line block ×12, first 2 shown]
	v_mul_f32_e32 v17, 0xbf737871, v4
	v_mul_f32_e32 v18, 0x3e9e377a, v4
	v_fmac_f32_e32 v42, 0x3f737871, v20
	v_fmac_f32_e32 v14, 0xbf737871, v22
	;; [unrolled: 1-line block ×11, first 2 shown]
	v_mul_f32_e32 v7, 0xbf167918, v32
	v_mul_f32_e32 v8, 0xbf4f1bbd, v32
	v_add_f32_e32 v0, v11, v17
	v_add_f32_e32 v1, v13, v18
	;; [unrolled: 1-line block ×4, first 2 shown]
	v_fmac_f32_e32 v42, 0x3e9e377a, v10
	v_fmac_f32_e32 v14, 0x3e9e377a, v16
	;; [unrolled: 1-line block ×4, first 2 shown]
	ds_write2_b64 v2, v[0:1], v[3:4] offset0:2 offset1:3
	v_sub_f32_e32 v0, v28, v40
	v_sub_f32_e32 v1, v29, v41
	v_add_f32_e32 v3, v42, v7
	v_add_f32_e32 v4, v14, v8
	ds_write2_b64 v2, v[3:4], v[0:1] offset0:4 offset1:5
	v_sub_f32_e32 v0, v43, v34
	v_sub_f32_e32 v1, v44, v35
	;; [unrolled: 1-line block ×4, first 2 shown]
	ds_write2_b64 v2, v[0:1], v[3:4] offset0:6 offset1:7
	v_sub_f32_e32 v1, v19, v6
	v_sub_f32_e32 v0, v9, v5
	;; [unrolled: 1-line block ×4, first 2 shown]
	ds_write2_b64 v2, v[0:1], v[3:4] offset0:8 offset1:9
	v_lshlrev_b32_e32 v0, 2, v58
	v_mov_b32_e32 v1, 0
	v_lshlrev_b64 v[3:4], 3, v[0:1]
	v_lshlrev_b32_e32 v0, 2, v60
	v_mov_b32_e32 v22, s13
	v_add_co_u32_e64 v19, s[0:1], s12, v3
	v_lshlrev_b64 v[7:8], 3, v[0:1]
	v_addc_co_u32_e64 v20, s[0:1], v22, v4, s[0:1]
	v_add_co_u32_e64 v33, s[0:1], s12, v7
	s_waitcnt lgkmcnt(0)
	; wave barrier
	s_waitcnt lgkmcnt(0)
	global_load_dwordx4 v[3:6], v[19:20], off offset:16
	v_addc_co_u32_e64 v34, s[0:1], v22, v8, s[0:1]
	global_load_dwordx4 v[7:10], v[33:34], off offset:16
	s_movk_i32 s0, 0xcd
	v_mul_lo_u16_sdwa v0, v68, s0 dst_sel:DWORD dst_unused:UNUSED_PAD src0_sel:BYTE_0 src1_sel:DWORD
	v_lshrrev_b16_e32 v0, 11, v0
	v_mul_lo_u16_e32 v0, 10, v0
	v_sub_u16_e32 v0, v68, v0
	v_and_b32_e32 v24, 0xff, v0
	v_lshlrev_b32_e32 v21, 5, v24
	global_load_dwordx4 v[11:14], v21, s[12:13]
	v_mul_lo_u16_sdwa v0, v70, s0 dst_sel:DWORD dst_unused:UNUSED_PAD src0_sel:BYTE_0 src1_sel:DWORD
	v_lshrrev_b16_e32 v0, 11, v0
	v_mul_lo_u16_e32 v0, 10, v0
	v_sub_u16_e32 v0, v70, v0
	v_and_b32_e32 v0, 0xff, v0
	v_lshlrev_b32_e32 v23, 5, v0
	global_load_dwordx4 v[15:18], v23, s[12:13]
	global_load_dwordx4 v[29:32], v21, s[12:13] offset:16
	global_load_dwordx4 v[81:84], v23, s[12:13] offset:16
	global_load_dwordx4 v[86:89], v[19:20], off
	global_load_dwordx4 v[91:94], v[33:34], off
	ds_read2_b64 v[25:28], v61 offset0:90 offset1:95
	ds_read2_b64 v[33:36], v61 offset0:120 offset1:125
	v_lshl_add_u32 v21, v60, 3, v78
	s_movk_i32 s0, 0xffb8
	v_mad_i32_i24 v23, v71, s0, v2
	v_lshl_add_u32 v20, v68, 3, v78
	v_lshl_add_u32 v24, v24, 3, v78
	v_lshl_add_u32 v0, v0, 3, v78
	s_waitcnt vmcnt(7) lgkmcnt(1)
	v_mul_f32_e32 v19, v25, v4
	v_fma_f32 v53, v26, v3, -v19
	v_mul_f32_e32 v72, v26, v4
	s_waitcnt vmcnt(6)
	v_mul_f32_e32 v19, v27, v8
	v_mul_f32_e32 v50, v28, v8
	v_fma_f32 v49, v28, v7, -v19
	s_waitcnt lgkmcnt(0)
	v_mul_f32_e32 v19, v33, v6
	v_fmac_f32_e32 v72, v25, v3
	v_fmac_f32_e32 v50, v27, v7
	v_mul_f32_e32 v80, v34, v6
	v_fma_f32 v74, v34, v5, -v19
	v_mul_f32_e32 v52, v36, v10
	ds_read2_b64 v[25:28], v61 offset0:100 offset1:105
	v_mul_f32_e32 v19, v35, v10
	v_fmac_f32_e32 v80, v33, v5
	v_fmac_f32_e32 v52, v35, v9
	v_fma_f32 v51, v36, v9, -v19
	ds_read2_b64 v[33:36], v61 offset0:130 offset1:135
	s_waitcnt lgkmcnt(1)
	v_mul_f32_e32 v46, v26, v4
	v_mul_f32_e32 v4, v25, v4
	v_fmac_f32_e32 v46, v25, v3
	v_fma_f32 v45, v26, v3, -v4
	s_waitcnt lgkmcnt(0)
	v_mul_f32_e32 v3, v33, v6
	v_mul_f32_e32 v48, v34, v6
	v_fma_f32 v47, v34, v5, -v3
	v_mul_f32_e32 v3, v27, v8
	v_fmac_f32_e32 v48, v33, v5
	v_mul_f32_e32 v43, v28, v8
	v_fma_f32 v41, v28, v7, -v3
	ds_read2_b64 v[3:6], v61 offset0:50 offset1:55
	v_fmac_f32_e32 v43, v27, v7
	v_mul_f32_e32 v44, v36, v10
	v_mul_f32_e32 v7, v35, v10
	v_fmac_f32_e32 v44, v35, v9
	v_fma_f32 v42, v36, v9, -v7
	ds_read2_b64 v[7:10], v61 offset0:80 offset1:85
	s_waitcnt vmcnt(5) lgkmcnt(1)
	v_mul_f32_e32 v35, v4, v12
	v_fmac_f32_e32 v35, v3, v11
	v_mul_f32_e32 v3, v3, v12
	v_fma_f32 v33, v4, v11, -v3
	s_waitcnt lgkmcnt(0)
	v_mul_f32_e32 v3, v7, v14
	v_fma_f32 v34, v8, v13, -v3
	s_waitcnt vmcnt(4)
	v_mul_f32_e32 v27, v6, v16
	v_mul_f32_e32 v3, v5, v16
	;; [unrolled: 1-line block ×3, first 2 shown]
	v_fmac_f32_e32 v27, v5, v15
	v_fma_f32 v25, v6, v15, -v3
	ds_read2_b64 v[3:6], v61 offset0:110 offset1:115
	v_fmac_f32_e32 v36, v7, v13
	v_mul_f32_e32 v28, v10, v18
	v_mul_f32_e32 v7, v9, v18
	v_fmac_f32_e32 v28, v9, v17
	v_fma_f32 v26, v10, v17, -v7
	ds_read2_b64 v[7:10], v61 offset0:140 offset1:145
	s_waitcnt vmcnt(3) lgkmcnt(1)
	v_mul_f32_e32 v39, v4, v30
	v_fmac_f32_e32 v39, v3, v29
	v_mul_f32_e32 v3, v3, v30
	v_fma_f32 v37, v4, v29, -v3
	s_waitcnt lgkmcnt(0)
	v_mul_f32_e32 v40, v8, v32
	v_mul_f32_e32 v3, v7, v32
	v_fmac_f32_e32 v40, v7, v31
	v_fma_f32 v38, v8, v31, -v3
	s_waitcnt vmcnt(2)
	v_mul_f32_e32 v31, v6, v82
	v_mul_f32_e32 v3, v5, v82
	v_fmac_f32_e32 v31, v5, v81
	v_fma_f32 v29, v6, v81, -v3
	ds_read2_b64 v[3:6], v61 offset0:60 offset1:65
	v_mul_f32_e32 v32, v10, v84
	v_mul_f32_e32 v7, v9, v84
	v_lshl_add_u32 v16, v67, 3, v78
	v_lshl_add_u32 v14, v66, 3, v78
	s_waitcnt vmcnt(1) lgkmcnt(0)
	v_mul_f32_e32 v84, v4, v89
	v_fmac_f32_e32 v84, v3, v88
	v_mul_f32_e32 v3, v3, v89
	v_fma_f32 v82, v4, v88, -v3
	s_waitcnt vmcnt(0)
	v_mul_f32_e32 v3, v5, v94
	v_fma_f32 v54, v6, v93, -v3
	ds_read_b64 v[3:4], v16
	v_lshl_add_u32 v17, v65, 3, v78
	v_fma_f32 v30, v10, v83, -v7
	ds_read_b64 v[99:100], v14
	ds_read_b64 v[10:11], v21
	;; [unrolled: 1-line block ×3, first 2 shown]
	v_lshl_add_u32 v15, v64, 3, v78
	s_waitcnt lgkmcnt(3)
	v_mul_f32_e32 v103, v4, v87
	v_fmac_f32_e32 v103, v3, v86
	v_mul_f32_e32 v3, v3, v87
	v_fma_f32 v90, v4, v86, -v3
	ds_read_b64 v[3:4], v17
	ds_read2_b64 v[95:98], v61 offset0:70 offset1:75
	v_fmac_f32_e32 v32, v9, v83
	v_mul_f32_e32 v75, v6, v94
	v_lshl_add_u32 v19, v73, 3, v78
	s_waitcnt lgkmcnt(1)
	v_mul_f32_e32 v2, v3, v87
	ds_read_b64 v[101:102], v15
	ds_read_b64 v[6:7], v19
	;; [unrolled: 1-line block ×3, first 2 shown]
	v_mul_f32_e32 v85, v4, v87
	v_fma_f32 v83, v4, v86, -v2
	s_waitcnt lgkmcnt(3)
	v_mul_f32_e32 v2, v95, v89
	v_fmac_f32_e32 v85, v3, v86
	v_fma_f32 v86, v96, v88, -v2
	v_mul_f32_e32 v2, v97, v94
	v_mul_f32_e32 v87, v96, v89
	v_fma_f32 v55, v98, v93, -v2
	v_mul_f32_e32 v2, v99, v92
	v_fmac_f32_e32 v87, v95, v88
	v_fma_f32 v88, v100, v91, -v2
	s_waitcnt lgkmcnt(2)
	v_mul_f32_e32 v2, v101, v92
	v_mul_f32_e32 v77, v98, v94
	v_fma_f32 v76, v102, v91, -v2
	v_sub_f32_e32 v2, v103, v84
	v_sub_f32_e32 v3, v80, v72
	v_fmac_f32_e32 v77, v97, v93
	v_add_f32_e32 v97, v2, v3
	v_add_f32_e32 v2, v12, v103
	;; [unrolled: 1-line block ×3, first 2 shown]
	v_mul_f32_e32 v89, v100, v92
	v_mul_f32_e32 v81, v102, v92
	v_add_f32_e32 v2, v2, v72
	v_fmac_f32_e32 v89, v99, v91
	v_fmac_f32_e32 v81, v101, v91
	v_add_f32_e32 v91, v2, v80
	v_add_f32_e32 v2, v84, v72
	v_fmac_f32_e32 v75, v5, v93
	v_add_f32_e32 v3, v13, v90
	v_fma_f32 v93, -0.5, v2, v12
	v_add_f32_e32 v2, v82, v53
	v_add_f32_e32 v3, v3, v82
	v_fma_f32 v94, -0.5, v2, v13
	v_add_f32_e32 v3, v3, v53
	v_sub_f32_e32 v99, v90, v74
	v_mov_b32_e32 v95, v93
	v_mov_b32_e32 v96, v94
	v_sub_f32_e32 v101, v103, v80
	v_add_f32_e32 v92, v3, v74
	v_sub_f32_e32 v2, v90, v82
	v_sub_f32_e32 v3, v74, v53
	v_fmac_f32_e32 v95, 0xbf737871, v99
	v_sub_f32_e32 v100, v82, v53
	v_fmac_f32_e32 v96, 0x3f737871, v101
	v_sub_f32_e32 v102, v84, v72
	v_add_f32_e32 v98, v2, v3
	v_fmac_f32_e32 v95, 0xbf167918, v100
	v_fmac_f32_e32 v96, 0x3f167918, v102
	v_fmac_f32_e32 v95, 0x3e9e377a, v97
	v_fmac_f32_e32 v96, 0x3e9e377a, v98
	v_lshl_add_u32 v18, v70, 3, v78
	ds_read_b64 v[4:5], v20
	ds_read_b64 v[2:3], v18
	s_waitcnt lgkmcnt(0)
	; wave barrier
	s_waitcnt lgkmcnt(0)
	ds_write2_b64 v61, v[91:92], v[95:96] offset1:10
	v_add_f32_e32 v91, v103, v80
	v_fma_f32 v12, -0.5, v91, v12
	v_mov_b32_e32 v91, v12
	v_sub_f32_e32 v84, v84, v103
	v_sub_f32_e32 v72, v72, v80
	v_fmac_f32_e32 v91, 0x3f737871, v100
	v_fmac_f32_e32 v12, 0xbf737871, v100
	v_add_f32_e32 v72, v84, v72
	v_fmac_f32_e32 v91, 0xbf167918, v99
	v_fmac_f32_e32 v12, 0x3f167918, v99
	;; [unrolled: 1-line block ×4, first 2 shown]
	v_add_f32_e32 v72, v90, v74
	v_fmac_f32_e32 v13, -0.5, v72
	v_mov_b32_e32 v92, v13
	v_sub_f32_e32 v72, v82, v90
	v_sub_f32_e32 v53, v53, v74
	v_fmac_f32_e32 v92, 0xbf737871, v102
	v_fmac_f32_e32 v13, 0x3f737871, v102
	v_add_f32_e32 v53, v72, v53
	v_fmac_f32_e32 v92, 0x3f167918, v101
	v_fmac_f32_e32 v13, 0xbf167918, v101
	;; [unrolled: 1-line block ×4, first 2 shown]
	v_add_f32_e32 v72, v75, v50
	v_fmac_f32_e32 v92, 0x3e9e377a, v53
	v_fmac_f32_e32 v13, 0x3e9e377a, v53
	;; [unrolled: 1-line block ×4, first 2 shown]
	v_fma_f32 v90, -0.5, v72, v10
	v_add_f32_e32 v72, v54, v49
	ds_write2_b64 v61, v[91:92], v[12:13] offset0:20 offset1:30
	v_fmac_f32_e32 v93, 0x3e9e377a, v97
	v_fmac_f32_e32 v94, 0x3e9e377a, v98
	v_sub_f32_e32 v12, v89, v75
	v_sub_f32_e32 v13, v52, v50
	v_fma_f32 v91, -0.5, v72, v11
	v_sub_f32_e32 v72, v88, v54
	v_sub_f32_e32 v74, v51, v49
	ds_write_b64 v61, v[93:94] offset:320
	v_add_f32_e32 v53, v12, v13
	v_add_f32_e32 v12, v10, v89
	;; [unrolled: 1-line block ×4, first 2 shown]
	v_sub_f32_e32 v74, v88, v51
	v_mov_b32_e32 v92, v90
	v_mov_b32_e32 v93, v91
	v_sub_f32_e32 v82, v89, v52
	v_add_f32_e32 v12, v12, v75
	v_add_f32_e32 v13, v13, v54
	v_fmac_f32_e32 v92, 0xbf737871, v74
	v_sub_f32_e32 v80, v54, v49
	v_fmac_f32_e32 v93, 0x3f737871, v82
	v_sub_f32_e32 v84, v75, v50
	v_add_f32_e32 v12, v12, v50
	v_add_f32_e32 v13, v13, v49
	v_fmac_f32_e32 v92, 0xbf167918, v80
	v_fmac_f32_e32 v93, 0x3f167918, v84
	v_add_f32_e32 v12, v12, v52
	v_add_f32_e32 v13, v13, v51
	v_fmac_f32_e32 v92, 0x3e9e377a, v53
	v_fmac_f32_e32 v93, 0x3e9e377a, v72
	ds_write2_b64 v21, v[12:13], v[92:93] offset1:10
	v_add_f32_e32 v12, v89, v52
	v_fma_f32 v10, -0.5, v12, v10
	v_sub_f32_e32 v12, v75, v89
	v_sub_f32_e32 v13, v50, v52
	v_add_f32_e32 v13, v12, v13
	v_mov_b32_e32 v12, v10
	v_fmac_f32_e32 v12, 0x3f737871, v80
	v_fmac_f32_e32 v10, 0xbf737871, v80
	;; [unrolled: 1-line block ×6, first 2 shown]
	v_add_f32_e32 v13, v88, v51
	v_fmac_f32_e32 v11, -0.5, v13
	v_sub_f32_e32 v13, v54, v88
	v_sub_f32_e32 v49, v49, v51
	v_add_f32_e32 v49, v13, v49
	v_mov_b32_e32 v13, v11
	v_fmac_f32_e32 v13, 0xbf737871, v84
	v_fmac_f32_e32 v11, 0x3f737871, v84
	;; [unrolled: 1-line block ×6, first 2 shown]
	ds_write2_b64 v21, v[12:13], v[10:11] offset0:20 offset1:30
	v_fmac_f32_e32 v90, 0x3f737871, v74
	v_fmac_f32_e32 v91, 0xbf737871, v82
	v_add_f32_e32 v12, v87, v46
	v_add_f32_e32 v13, v86, v45
	v_fmac_f32_e32 v90, 0x3f167918, v80
	v_fmac_f32_e32 v91, 0xbf167918, v84
	v_sub_f32_e32 v10, v85, v87
	v_sub_f32_e32 v11, v48, v46
	v_fma_f32 v12, -0.5, v12, v8
	v_fma_f32 v13, -0.5, v13, v9
	v_sub_f32_e32 v49, v83, v86
	v_sub_f32_e32 v50, v47, v45
	v_fmac_f32_e32 v90, 0x3e9e377a, v53
	v_fmac_f32_e32 v91, 0x3e9e377a, v72
	v_add_f32_e32 v51, v10, v11
	v_add_f32_e32 v10, v8, v85
	;; [unrolled: 1-line block ×4, first 2 shown]
	v_sub_f32_e32 v53, v83, v47
	v_mov_b32_e32 v49, v12
	v_mov_b32_e32 v50, v13
	v_sub_f32_e32 v72, v85, v48
	v_add_f32_e32 v10, v10, v87
	v_add_f32_e32 v11, v11, v86
	v_fmac_f32_e32 v49, 0xbf737871, v53
	v_sub_f32_e32 v54, v86, v45
	v_fmac_f32_e32 v50, 0x3f737871, v72
	v_sub_f32_e32 v74, v87, v46
	v_add_f32_e32 v10, v10, v46
	v_add_f32_e32 v11, v11, v45
	v_fmac_f32_e32 v49, 0xbf167918, v54
	v_fmac_f32_e32 v50, 0x3f167918, v74
	v_add_f32_e32 v10, v10, v48
	v_add_f32_e32 v11, v11, v47
	v_fmac_f32_e32 v49, 0x3e9e377a, v51
	v_fmac_f32_e32 v50, 0x3e9e377a, v52
	ds_write_b64 v21, v[90:91] offset:320
	ds_write2_b64 v61, v[10:11], v[49:50] offset0:50 offset1:60
	v_add_f32_e32 v10, v85, v48
	v_fma_f32 v8, -0.5, v10, v8
	v_sub_f32_e32 v10, v87, v85
	v_sub_f32_e32 v11, v46, v48
	v_add_f32_e32 v46, v10, v11
	v_add_f32_e32 v10, v83, v47
	v_fmac_f32_e32 v9, -0.5, v10
	v_sub_f32_e32 v10, v86, v83
	v_sub_f32_e32 v11, v45, v47
	v_add_f32_e32 v45, v10, v11
	v_mov_b32_e32 v10, v8
	v_mov_b32_e32 v11, v9
	v_fmac_f32_e32 v10, 0x3f737871, v54
	v_fmac_f32_e32 v11, 0xbf737871, v74
	;; [unrolled: 1-line block ×12, first 2 shown]
	ds_write_b64 v61, v[10:11] offset:560
	v_fmac_f32_e32 v8, 0x3e9e377a, v46
	v_fmac_f32_e32 v9, 0x3e9e377a, v45
	v_lshl_add_u32 v10, v69, 3, v78
	v_fmac_f32_e32 v12, 0x3f167918, v54
	v_fmac_f32_e32 v13, 0xbf167918, v74
	ds_write_b64 v10, v[8:9]
	v_fmac_f32_e32 v12, 0x3e9e377a, v51
	v_fmac_f32_e32 v13, 0x3e9e377a, v52
	v_add_f32_e32 v10, v77, v43
	v_add_f32_e32 v11, v55, v41
	ds_write_b64 v61, v[12:13] offset:720
	v_sub_f32_e32 v8, v81, v77
	v_sub_f32_e32 v9, v44, v43
	v_fma_f32 v10, -0.5, v10, v6
	v_fma_f32 v11, -0.5, v11, v7
	v_sub_f32_e32 v12, v76, v55
	v_sub_f32_e32 v13, v42, v41
	v_add_f32_e32 v45, v8, v9
	v_add_f32_e32 v8, v6, v81
	;; [unrolled: 1-line block ×4, first 2 shown]
	v_sub_f32_e32 v47, v76, v42
	v_mov_b32_e32 v12, v10
	v_mov_b32_e32 v13, v11
	v_sub_f32_e32 v49, v81, v44
	v_add_f32_e32 v8, v8, v77
	v_add_f32_e32 v9, v9, v55
	v_fmac_f32_e32 v12, 0xbf737871, v47
	v_sub_f32_e32 v48, v55, v41
	v_fmac_f32_e32 v13, 0x3f737871, v49
	v_sub_f32_e32 v50, v77, v43
	v_add_f32_e32 v8, v8, v43
	v_add_f32_e32 v9, v9, v41
	v_fmac_f32_e32 v12, 0xbf167918, v48
	v_fmac_f32_e32 v13, 0x3f167918, v50
	v_add_f32_e32 v8, v8, v44
	v_add_f32_e32 v9, v9, v42
	v_fmac_f32_e32 v12, 0x3e9e377a, v45
	v_fmac_f32_e32 v13, 0x3e9e377a, v46
	ds_write2_b64 v21, v[8:9], v[12:13] offset0:50 offset1:60
	v_add_f32_e32 v8, v81, v44
	v_fma_f32 v6, -0.5, v8, v6
	v_sub_f32_e32 v8, v77, v81
	v_sub_f32_e32 v9, v43, v44
	v_add_f32_e32 v9, v8, v9
	v_mov_b32_e32 v8, v6
	v_fmac_f32_e32 v8, 0x3f737871, v48
	v_fmac_f32_e32 v6, 0xbf737871, v48
	;; [unrolled: 1-line block ×6, first 2 shown]
	v_add_f32_e32 v9, v76, v42
	v_fmac_f32_e32 v7, -0.5, v9
	v_sub_f32_e32 v9, v55, v76
	v_sub_f32_e32 v12, v41, v42
	v_add_f32_e32 v12, v9, v12
	v_mov_b32_e32 v9, v7
	v_fmac_f32_e32 v9, 0xbf737871, v50
	v_fmac_f32_e32 v7, 0x3f737871, v50
	;; [unrolled: 1-line block ×10, first 2 shown]
	ds_write2_b64 v21, v[8:9], v[6:7] offset0:70 offset1:80
	v_fmac_f32_e32 v10, 0x3e9e377a, v45
	v_fmac_f32_e32 v11, 0x3e9e377a, v46
	v_add_f32_e32 v8, v36, v39
	v_add_f32_e32 v9, v34, v37
	ds_write_b64 v21, v[10:11] offset:720
	v_sub_f32_e32 v6, v35, v36
	v_sub_f32_e32 v7, v40, v39
	v_fma_f32 v8, -0.5, v8, v4
	v_fma_f32 v9, -0.5, v9, v5
	v_sub_f32_e32 v10, v33, v34
	v_sub_f32_e32 v11, v38, v37
	v_add_f32_e32 v12, v6, v7
	v_add_f32_e32 v6, v4, v35
	;; [unrolled: 1-line block ×4, first 2 shown]
	v_sub_f32_e32 v41, v33, v38
	v_mov_b32_e32 v10, v8
	v_mov_b32_e32 v11, v9
	v_sub_f32_e32 v43, v35, v40
	v_add_f32_e32 v6, v6, v36
	v_add_f32_e32 v7, v7, v34
	v_fmac_f32_e32 v10, 0xbf737871, v41
	v_sub_f32_e32 v42, v34, v37
	v_fmac_f32_e32 v11, 0x3f737871, v43
	v_sub_f32_e32 v44, v36, v39
	v_add_f32_e32 v6, v6, v39
	v_add_f32_e32 v7, v7, v37
	v_fmac_f32_e32 v10, 0xbf167918, v42
	v_fmac_f32_e32 v11, 0x3f167918, v44
	v_add_f32_e32 v6, v6, v40
	v_add_f32_e32 v7, v7, v38
	v_fmac_f32_e32 v10, 0x3e9e377a, v12
	v_fmac_f32_e32 v11, 0x3e9e377a, v13
	ds_write2_b64 v24, v[6:7], v[10:11] offset0:100 offset1:110
	v_add_f32_e32 v6, v35, v40
	v_fma_f32 v4, -0.5, v6, v4
	v_sub_f32_e32 v6, v36, v35
	v_sub_f32_e32 v7, v39, v40
	v_add_f32_e32 v7, v6, v7
	v_mov_b32_e32 v6, v4
	v_fmac_f32_e32 v6, 0x3f737871, v42
	v_fmac_f32_e32 v4, 0xbf737871, v42
	;; [unrolled: 1-line block ×6, first 2 shown]
	v_add_f32_e32 v7, v33, v38
	v_fmac_f32_e32 v5, -0.5, v7
	v_sub_f32_e32 v7, v34, v33
	v_sub_f32_e32 v10, v37, v38
	v_add_f32_e32 v10, v7, v10
	v_mov_b32_e32 v7, v5
	v_fmac_f32_e32 v7, 0xbf737871, v44
	v_fmac_f32_e32 v5, 0x3f737871, v44
	;; [unrolled: 1-line block ×6, first 2 shown]
	ds_write2_b64 v24, v[6:7], v[4:5] offset0:120 offset1:130
	v_add_f32_e32 v6, v28, v31
	v_add_f32_e32 v7, v26, v29
	v_sub_f32_e32 v4, v27, v28
	v_sub_f32_e32 v5, v32, v31
	v_fma_f32 v6, -0.5, v6, v2
	v_fma_f32 v7, -0.5, v7, v3
	v_sub_f32_e32 v10, v25, v26
	v_sub_f32_e32 v11, v30, v29
	v_add_f32_e32 v33, v4, v5
	v_add_f32_e32 v4, v2, v27
	;; [unrolled: 1-line block ×4, first 2 shown]
	v_sub_f32_e32 v35, v25, v30
	v_mov_b32_e32 v10, v6
	v_mov_b32_e32 v11, v7
	v_sub_f32_e32 v37, v27, v32
	v_add_f32_e32 v4, v4, v28
	v_add_f32_e32 v5, v5, v26
	v_fmac_f32_e32 v10, 0xbf737871, v35
	v_sub_f32_e32 v36, v26, v29
	v_fmac_f32_e32 v11, 0x3f737871, v37
	v_sub_f32_e32 v38, v28, v31
	v_add_f32_e32 v4, v4, v31
	v_add_f32_e32 v5, v5, v29
	v_fmac_f32_e32 v10, 0xbf167918, v36
	v_fmac_f32_e32 v11, 0x3f167918, v38
	v_add_f32_e32 v4, v4, v32
	v_add_f32_e32 v5, v5, v30
	v_fmac_f32_e32 v10, 0x3e9e377a, v33
	v_fmac_f32_e32 v11, 0x3e9e377a, v34
	ds_write2_b64 v0, v[4:5], v[10:11] offset0:100 offset1:110
	v_add_f32_e32 v4, v27, v32
	v_fma_f32 v2, -0.5, v4, v2
	v_sub_f32_e32 v4, v28, v27
	v_sub_f32_e32 v5, v31, v32
	v_add_f32_e32 v5, v4, v5
	v_mov_b32_e32 v4, v2
	v_fmac_f32_e32 v4, 0x3f737871, v36
	v_fmac_f32_e32 v2, 0xbf737871, v36
	;; [unrolled: 1-line block ×6, first 2 shown]
	v_add_f32_e32 v5, v25, v30
	v_fmac_f32_e32 v3, -0.5, v5
	v_sub_f32_e32 v5, v26, v25
	v_sub_f32_e32 v10, v29, v30
	v_add_f32_e32 v10, v5, v10
	v_mov_b32_e32 v5, v3
	v_fmac_f32_e32 v5, 0xbf737871, v38
	v_fmac_f32_e32 v3, 0x3f737871, v38
	;; [unrolled: 1-line block ×18, first 2 shown]
	ds_write2_b64 v0, v[4:5], v[2:3] offset0:120 offset1:130
	ds_write_b64 v24, v[8:9] offset:1120
	ds_write_b64 v0, v[6:7] offset:1120
	v_lshlrev_b32_e32 v0, 1, v58
	v_lshlrev_b64 v[52:53], 3, v[0:1]
	v_lshlrev_b32_e32 v0, 1, v60
	v_lshlrev_b64 v[74:75], 3, v[0:1]
	;; [unrolled: 2-line block ×3, first 2 shown]
	v_lshlrev_b32_e32 v0, 1, v73
	v_add_co_u32_e64 v2, s[0:1], s12, v2
	v_lshlrev_b64 v[6:7], 3, v[0:1]
	v_addc_co_u32_e64 v3, s[0:1], v22, v3, s[0:1]
	s_waitcnt lgkmcnt(0)
	; wave barrier
	s_waitcnt lgkmcnt(0)
	global_load_dwordx4 v[2:5], v[2:3], off offset:320
	v_add_co_u32_e64 v6, s[0:1], s12, v6
	v_addc_co_u32_e64 v7, s[0:1], v22, v7, s[0:1]
	global_load_dwordx4 v[6:9], v[6:7], off offset:320
	v_lshlrev_b32_e32 v0, 1, v68
	v_lshlrev_b64 v[10:11], 3, v[0:1]
	v_lshlrev_b32_e32 v0, 1, v70
	v_add_co_u32_e64 v10, s[0:1], s12, v10
	v_addc_co_u32_e64 v11, s[0:1], v22, v11, s[0:1]
	v_lshlrev_b64 v[24:25], 3, v[0:1]
	global_load_dwordx4 v[10:13], v[10:11], off offset:320
	v_add_co_u32_e64 v24, s[0:1], s12, v24
	v_addc_co_u32_e64 v25, s[0:1], v22, v25, s[0:1]
	global_load_dwordx4 v[24:27], v[24:25], off offset:320
	v_lshlrev_b32_e32 v0, 1, v67
	v_lshlrev_b64 v[28:29], 3, v[0:1]
	v_lshlrev_b32_e32 v0, 1, v66
	v_add_co_u32_e64 v28, s[0:1], s12, v28
	v_addc_co_u32_e64 v29, s[0:1], v22, v29, s[0:1]
	v_lshlrev_b64 v[32:33], 3, v[0:1]
	global_load_dwordx4 v[28:31], v[28:29], off offset:320
	v_add_co_u32_e64 v32, s[0:1], s12, v32
	v_addc_co_u32_e64 v33, s[0:1], v22, v33, s[0:1]
	global_load_dwordx4 v[32:35], v[32:33], off offset:320
	v_lshlrev_b32_e32 v0, 1, v65
	v_lshlrev_b64 v[36:37], 3, v[0:1]
	v_lshlrev_b32_e32 v0, 1, v64
	v_add_co_u32_e64 v36, s[0:1], s12, v36
	v_addc_co_u32_e64 v37, s[0:1], v22, v37, s[0:1]
	global_load_dwordx4 v[36:39], v[36:37], off offset:320
	v_lshlrev_b64 v[40:41], 3, v[0:1]
	v_add_co_u32_e64 v40, s[0:1], s12, v40
	v_addc_co_u32_e64 v41, s[0:1], v22, v41, s[0:1]
	global_load_dwordx4 v[40:43], v[40:41], off offset:320
	v_add_co_u32_e64 v52, s[0:1], s12, v52
	v_addc_co_u32_e64 v53, s[0:1], v22, v53, s[0:1]
	ds_read2_b64 v[44:47], v61 offset0:60 offset1:65
	ds_read2_b64 v[48:51], v61 offset0:110 offset1:115
	global_load_dwordx4 v[52:55], v[52:53], off offset:320
	v_add_co_u32_e64 v74, s[0:1], s12, v74
	v_addc_co_u32_e64 v75, s[0:1], v22, v75, s[0:1]
	global_load_dwordx4 v[74:77], v[74:75], off offset:320
	v_cmp_ne_u32_e64 s[0:1], 0, v58
	s_waitcnt vmcnt(9) lgkmcnt(1)
	v_mul_f32_e32 v0, v45, v3
	v_mul_f32_e32 v3, v44, v3
	v_fmac_f32_e32 v0, v44, v2
	v_fma_f32 v22, v45, v2, -v3
	s_waitcnt lgkmcnt(0)
	v_mul_f32_e32 v44, v49, v5
	v_mul_f32_e32 v2, v48, v5
	v_fmac_f32_e32 v44, v48, v4
	v_fma_f32 v45, v49, v4, -v2
	s_waitcnt vmcnt(8)
	v_mul_f32_e32 v48, v47, v7
	v_mul_f32_e32 v2, v46, v7
	v_fmac_f32_e32 v48, v46, v6
	v_fma_f32 v46, v47, v6, -v2
	ds_read2_b64 v[2:5], v61 offset0:70 offset1:75
	v_mul_f32_e32 v47, v51, v9
	v_mul_f32_e32 v6, v50, v9
	v_fmac_f32_e32 v47, v50, v8
	v_fma_f32 v49, v51, v8, -v6
	ds_read2_b64 v[6:9], v61 offset0:120 offset1:125
	s_waitcnt vmcnt(7) lgkmcnt(1)
	v_mul_f32_e32 v50, v3, v11
	v_fmac_f32_e32 v50, v2, v10
	v_mul_f32_e32 v2, v2, v11
	v_fma_f32 v51, v3, v10, -v2
	s_waitcnt lgkmcnt(0)
	v_mul_f32_e32 v2, v6, v13
	v_fma_f32 v72, v7, v12, -v2
	s_waitcnt vmcnt(6)
	v_mul_f32_e32 v80, v5, v25
	v_mul_f32_e32 v2, v4, v25
	;; [unrolled: 1-line block ×3, first 2 shown]
	v_fmac_f32_e32 v80, v4, v24
	v_fma_f32 v81, v5, v24, -v2
	ds_read2_b64 v[2:5], v61 offset0:80 offset1:85
	v_fmac_f32_e32 v69, v6, v12
	v_mul_f32_e32 v82, v9, v27
	v_mul_f32_e32 v6, v8, v27
	v_fmac_f32_e32 v82, v8, v26
	v_fma_f32 v83, v9, v26, -v6
	ds_read2_b64 v[6:9], v61 offset0:130 offset1:135
	s_waitcnt vmcnt(5) lgkmcnt(1)
	v_mul_f32_e32 v84, v3, v29
	v_fmac_f32_e32 v84, v2, v28
	v_mul_f32_e32 v2, v2, v29
	v_fma_f32 v85, v3, v28, -v2
	s_waitcnt lgkmcnt(0)
	v_mul_f32_e32 v2, v6, v31
	v_fma_f32 v87, v7, v30, -v2
	s_waitcnt vmcnt(4)
	v_mul_f32_e32 v88, v5, v33
	v_mul_f32_e32 v2, v4, v33
	;; [unrolled: 1-line block ×3, first 2 shown]
	v_fmac_f32_e32 v88, v4, v32
	v_fma_f32 v89, v5, v32, -v2
	ds_read2_b64 v[2:5], v61 offset0:90 offset1:95
	v_fmac_f32_e32 v86, v6, v30
	v_mul_f32_e32 v90, v9, v35
	v_mul_f32_e32 v6, v8, v35
	v_fmac_f32_e32 v90, v8, v34
	v_fma_f32 v91, v9, v34, -v6
	ds_read2_b64 v[6:9], v61 offset0:140 offset1:145
	s_waitcnt vmcnt(3) lgkmcnt(1)
	v_mul_f32_e32 v92, v3, v37
	v_fmac_f32_e32 v92, v2, v36
	v_mul_f32_e32 v2, v2, v37
	v_fma_f32 v36, v3, v36, -v2
	s_waitcnt lgkmcnt(0)
	v_mul_f32_e32 v37, v7, v39
	v_mul_f32_e32 v2, v6, v39
	v_fmac_f32_e32 v37, v6, v38
	v_fma_f32 v38, v7, v38, -v2
	ds_read_b64 v[6:7], v61 offset:400
	s_waitcnt vmcnt(2)
	v_mul_f32_e32 v39, v5, v41
	v_mul_f32_e32 v2, v4, v41
	v_fmac_f32_e32 v39, v4, v40
	v_fma_f32 v40, v5, v40, -v2
	v_mul_f32_e32 v41, v9, v43
	v_mul_f32_e32 v2, v8, v43
	v_fmac_f32_e32 v41, v8, v42
	v_fma_f32 v42, v9, v42, -v2
	ds_read2_b64 v[2:5], v61 offset0:100 offset1:105
	ds_read2_b32 v[8:9], v61 offset0:110 offset1:111
	ds_read_b64 v[10:11], v79
	s_waitcnt vmcnt(1) lgkmcnt(3)
	v_mul_f32_e32 v12, v53, v7
	v_fmac_f32_e32 v12, v52, v6
	v_mul_f32_e32 v6, v53, v6
	v_fma_f32 v6, v52, v7, -v6
	s_waitcnt lgkmcnt(2)
	v_mul_f32_e32 v7, v55, v3
	v_fmac_f32_e32 v7, v54, v2
	v_mul_f32_e32 v2, v55, v2
	v_fma_f32 v13, v54, v3, -v2
	s_waitcnt vmcnt(0)
	v_mul_f32_e32 v43, v5, v77
	v_mul_f32_e32 v2, v4, v77
	v_fmac_f32_e32 v43, v4, v76
	v_fma_f32 v52, v5, v76, -v2
	s_waitcnt lgkmcnt(1)
	v_mul_f32_e32 v2, v75, v8
	v_add_f32_e32 v3, v12, v7
	v_add_f32_e32 v4, v6, v13
	v_mul_f32_e32 v53, v9, v75
	v_fma_f32 v54, v9, v74, -v2
	s_waitcnt lgkmcnt(0)
	v_add_f32_e32 v2, v10, v12
	v_fma_f32 v10, -0.5, v3, v10
	v_add_f32_e32 v3, v11, v6
	v_fmac_f32_e32 v11, -0.5, v4
	v_fmac_f32_e32 v53, v74, v8
	v_sub_f32_e32 v55, v6, v13
	v_sub_f32_e32 v74, v12, v7
	v_mov_b32_e32 v4, v10
	v_mov_b32_e32 v5, v11
	v_add_f32_e32 v2, v2, v7
	v_add_f32_e32 v3, v3, v13
	v_fmac_f32_e32 v4, 0xbf5db3d7, v55
	v_fmac_f32_e32 v5, 0x3f5db3d7, v74
	ds_read_b64 v[6:7], v18
	ds_read_b64 v[8:9], v23
	;; [unrolled: 1-line block ×9, first 2 shown]
	s_waitcnt lgkmcnt(0)
	; wave barrier
	s_waitcnt lgkmcnt(0)
	ds_write2_b64 v61, v[2:3], v[4:5] offset1:50
	v_add_f32_e32 v3, v53, v43
	v_add_f32_e32 v4, v54, v52
	v_fmac_f32_e32 v10, 0x3f5db3d7, v55
	v_fmac_f32_e32 v11, 0xbf5db3d7, v74
	v_add_f32_e32 v2, v24, v53
	v_fma_f32 v24, -0.5, v3, v24
	v_add_f32_e32 v3, v25, v54
	v_fmac_f32_e32 v25, -0.5, v4
	ds_write_b64 v61, v[10:11] offset:800
	v_sub_f32_e32 v10, v54, v52
	v_sub_f32_e32 v11, v53, v43
	v_mov_b32_e32 v4, v24
	v_mov_b32_e32 v5, v25
	v_add_f32_e32 v2, v2, v43
	v_add_f32_e32 v3, v3, v52
	v_fmac_f32_e32 v4, 0xbf5db3d7, v10
	v_fmac_f32_e32 v5, 0x3f5db3d7, v11
	ds_write2_b64 v21, v[2:3], v[4:5] offset1:50
	v_add_f32_e32 v3, v0, v44
	v_add_f32_e32 v4, v22, v45
	;; [unrolled: 1-line block ×3, first 2 shown]
	v_fma_f32 v8, -0.5, v3, v8
	v_add_f32_e32 v3, v9, v22
	v_fmac_f32_e32 v9, -0.5, v4
	v_fmac_f32_e32 v24, 0x3f5db3d7, v10
	v_sub_f32_e32 v10, v22, v45
	v_sub_f32_e32 v0, v0, v44
	v_mov_b32_e32 v4, v8
	v_mov_b32_e32 v5, v9
	v_fmac_f32_e32 v25, 0xbf5db3d7, v11
	v_add_f32_e32 v2, v2, v44
	v_add_f32_e32 v3, v3, v45
	v_fmac_f32_e32 v4, 0xbf5db3d7, v10
	v_fmac_f32_e32 v5, 0x3f5db3d7, v0
	ds_write_b64 v21, v[24:25] offset:800
	ds_write2_b64 v23, v[2:3], v[4:5] offset1:50
	v_fmac_f32_e32 v9, 0xbf5db3d7, v0
	v_add_f32_e32 v0, v32, v48
	v_add_f32_e32 v2, v48, v47
	;; [unrolled: 1-line block ×3, first 2 shown]
	v_fmac_f32_e32 v8, 0x3f5db3d7, v10
	v_fma_f32 v32, -0.5, v2, v32
	v_add_f32_e32 v2, v0, v47
	v_add_f32_e32 v0, v33, v46
	v_fmac_f32_e32 v33, -0.5, v4
	ds_write_b64 v23, v[8:9] offset:800
	v_add_f32_e32 v3, v0, v49
	v_sub_f32_e32 v0, v46, v49
	v_sub_f32_e32 v8, v48, v47
	v_mov_b32_e32 v4, v32
	v_mov_b32_e32 v5, v33
	v_fmac_f32_e32 v4, 0xbf5db3d7, v0
	v_fmac_f32_e32 v5, 0x3f5db3d7, v8
	ds_write2_b64 v19, v[2:3], v[4:5] offset1:50
	v_fmac_f32_e32 v32, 0x3f5db3d7, v0
	v_add_f32_e32 v0, v28, v50
	v_add_f32_e32 v2, v50, v69
	;; [unrolled: 1-line block ×3, first 2 shown]
	v_fma_f32 v28, -0.5, v2, v28
	v_add_f32_e32 v2, v0, v69
	v_add_f32_e32 v0, v29, v51
	v_fmac_f32_e32 v29, -0.5, v4
	v_fmac_f32_e32 v33, 0xbf5db3d7, v8
	v_add_f32_e32 v3, v0, v72
	v_sub_f32_e32 v0, v51, v72
	v_sub_f32_e32 v8, v50, v69
	v_mov_b32_e32 v4, v28
	v_mov_b32_e32 v5, v29
	v_fmac_f32_e32 v4, 0xbf5db3d7, v0
	v_fmac_f32_e32 v5, 0x3f5db3d7, v8
	ds_write_b64 v19, v[32:33] offset:800
	ds_write2_b64 v20, v[2:3], v[4:5] offset1:50
	v_fmac_f32_e32 v28, 0x3f5db3d7, v0
	v_add_f32_e32 v0, v6, v80
	v_add_f32_e32 v2, v80, v82
	;; [unrolled: 1-line block ×3, first 2 shown]
	v_fma_f32 v6, -0.5, v2, v6
	v_add_f32_e32 v2, v0, v82
	v_add_f32_e32 v0, v7, v81
	v_fmac_f32_e32 v7, -0.5, v4
	v_fmac_f32_e32 v29, 0xbf5db3d7, v8
	v_add_f32_e32 v3, v0, v83
	v_sub_f32_e32 v0, v81, v83
	v_sub_f32_e32 v8, v80, v82
	v_mov_b32_e32 v4, v6
	v_mov_b32_e32 v5, v7
	v_fmac_f32_e32 v4, 0xbf5db3d7, v0
	v_fmac_f32_e32 v5, 0x3f5db3d7, v8
	ds_write_b64 v20, v[28:29] offset:800
	ds_write2_b64 v18, v[2:3], v[4:5] offset1:50
	v_fmac_f32_e32 v6, 0x3f5db3d7, v0
	v_add_f32_e32 v0, v26, v84
	v_add_f32_e32 v2, v84, v86
	;; [unrolled: 1-line block ×3, first 2 shown]
	v_fmac_f32_e32 v7, 0xbf5db3d7, v8
	v_fma_f32 v26, -0.5, v2, v26
	v_add_f32_e32 v2, v0, v86
	v_add_f32_e32 v0, v27, v85
	v_fmac_f32_e32 v27, -0.5, v4
	ds_write_b64 v18, v[6:7] offset:800
	v_add_f32_e32 v3, v0, v87
	v_sub_f32_e32 v0, v85, v87
	v_sub_f32_e32 v6, v84, v86
	v_mov_b32_e32 v4, v26
	v_mov_b32_e32 v5, v27
	v_fmac_f32_e32 v4, 0xbf5db3d7, v0
	v_fmac_f32_e32 v5, 0x3f5db3d7, v6
	ds_write2_b64 v16, v[2:3], v[4:5] offset1:50
	v_fmac_f32_e32 v26, 0x3f5db3d7, v0
	v_add_f32_e32 v0, v12, v88
	v_add_f32_e32 v2, v88, v90
	;; [unrolled: 1-line block ×3, first 2 shown]
	v_fma_f32 v12, -0.5, v2, v12
	v_add_f32_e32 v2, v0, v90
	v_add_f32_e32 v0, v13, v89
	v_fmac_f32_e32 v13, -0.5, v4
	v_fmac_f32_e32 v27, 0xbf5db3d7, v6
	v_add_f32_e32 v3, v0, v91
	v_sub_f32_e32 v0, v89, v91
	v_sub_f32_e32 v6, v88, v90
	v_mov_b32_e32 v4, v12
	v_mov_b32_e32 v5, v13
	v_fmac_f32_e32 v4, 0xbf5db3d7, v0
	v_fmac_f32_e32 v5, 0x3f5db3d7, v6
	ds_write_b64 v16, v[26:27] offset:800
	ds_write2_b64 v14, v[2:3], v[4:5] offset1:50
	v_fmac_f32_e32 v12, 0x3f5db3d7, v0
	v_add_f32_e32 v0, v34, v92
	v_add_f32_e32 v2, v92, v37
	;; [unrolled: 1-line block ×3, first 2 shown]
	v_fma_f32 v34, -0.5, v2, v34
	v_add_f32_e32 v2, v0, v37
	v_add_f32_e32 v0, v35, v36
	v_fmac_f32_e32 v35, -0.5, v4
	v_fmac_f32_e32 v13, 0xbf5db3d7, v6
	v_add_f32_e32 v3, v0, v38
	v_sub_f32_e32 v0, v36, v38
	v_sub_f32_e32 v6, v92, v37
	v_mov_b32_e32 v4, v34
	v_mov_b32_e32 v5, v35
	v_fmac_f32_e32 v4, 0xbf5db3d7, v0
	v_fmac_f32_e32 v5, 0x3f5db3d7, v6
	ds_write_b64 v14, v[12:13] offset:800
	ds_write2_b64 v17, v[2:3], v[4:5] offset1:50
	v_fmac_f32_e32 v34, 0x3f5db3d7, v0
	v_add_f32_e32 v0, v30, v39
	v_add_f32_e32 v2, v39, v41
	;; [unrolled: 1-line block ×3, first 2 shown]
	v_fma_f32 v30, -0.5, v2, v30
	v_add_f32_e32 v2, v0, v41
	v_add_f32_e32 v0, v31, v40
	v_fmac_f32_e32 v31, -0.5, v4
	v_fmac_f32_e32 v35, 0xbf5db3d7, v6
	v_add_f32_e32 v3, v0, v42
	v_sub_f32_e32 v0, v40, v42
	v_sub_f32_e32 v6, v39, v41
	v_mov_b32_e32 v4, v30
	v_mov_b32_e32 v5, v31
	v_fmac_f32_e32 v4, 0xbf5db3d7, v0
	v_fmac_f32_e32 v5, 0x3f5db3d7, v6
	;; [unrolled: 1-line block ×4, first 2 shown]
	ds_write_b64 v17, v[34:35] offset:800
	ds_write2_b64 v15, v[2:3], v[4:5] offset1:50
	ds_write_b64 v15, v[30:31] offset:800
	s_waitcnt lgkmcnt(0)
	; wave barrier
	s_waitcnt lgkmcnt(0)
	ds_read_b64 v[6:7], v79
	v_sub_u32_e32 v0, v78, v59
                                        ; implicit-def: $vgpr8
                                        ; implicit-def: $vgpr5
                                        ; implicit-def: $vgpr2_vgpr3
	s_and_saveexec_b64 s[4:5], s[0:1]
	s_xor_b64 s[4:5], exec, s[4:5]
	s_cbranch_execz .LBB0_14
; %bb.13:
	v_mov_b32_e32 v59, v1
	v_lshlrev_b64 v[1:2], 3, v[58:59]
	v_mov_b32_e32 v3, s13
	v_add_co_u32_e64 v1, s[0:1], s12, v1
	v_addc_co_u32_e64 v2, s[0:1], v3, v2, s[0:1]
	global_load_dwordx2 v[1:2], v[1:2], off offset:1120
	ds_read_b64 v[3:4], v0 offset:1200
	s_waitcnt lgkmcnt(0)
	v_add_f32_e32 v5, v3, v6
	v_sub_f32_e32 v3, v6, v3
	v_add_f32_e32 v8, v4, v7
	v_sub_f32_e32 v4, v7, v4
	v_mul_f32_e32 v3, 0.5, v3
	v_mul_f32_e32 v6, 0.5, v8
	;; [unrolled: 1-line block ×3, first 2 shown]
	s_waitcnt vmcnt(0)
	v_mul_f32_e32 v7, v2, v3
	v_fma_f32 v8, v6, v2, v4
	v_fma_f32 v2, v6, v2, -v4
	v_fma_f32 v9, 0.5, v5, v7
	v_fma_f32 v8, -v1, v3, v8
	v_fma_f32 v4, v5, 0.5, -v7
	v_fma_f32 v5, -v1, v3, v2
	v_fmac_f32_e32 v9, v1, v6
	v_mov_b32_e32 v2, v58
	v_fma_f32 v4, -v1, v6, v4
	ds_write_b32 v79, v9
	v_mov_b32_e32 v3, v59
                                        ; implicit-def: $vgpr6_vgpr7
.LBB0_14:
	s_andn2_saveexec_b64 s[0:1], s[4:5]
	s_cbranch_execz .LBB0_16
; %bb.15:
	ds_read_b32 v1, v78 offset:604
	s_waitcnt lgkmcnt(1)
	v_add_f32_e32 v5, v6, v7
	v_mov_b32_e32 v2, 0
	v_mov_b32_e32 v8, 0
	v_sub_f32_e32 v4, v6, v7
	v_mov_b32_e32 v3, 0
	ds_write_b32 v79, v5
	s_waitcnt lgkmcnt(1)
	v_xor_b32_e32 v1, 0x80000000, v1
	v_mov_b32_e32 v5, v8
	ds_write_b32 v78, v1 offset:604
.LBB0_16:
	s_or_b64 exec, exec, s[0:1]
	v_mov_b32_e32 v61, 0
	s_waitcnt lgkmcnt(0)
	v_lshlrev_b64 v[6:7], 3, v[60:61]
	v_mov_b32_e32 v1, s13
	v_add_co_u32_e64 v6, s[0:1], s12, v6
	v_addc_co_u32_e64 v7, s[0:1], v1, v7, s[0:1]
	global_load_dwordx2 v[6:7], v[6:7], off offset:1120
	v_mov_b32_e32 v72, v61
	v_lshlrev_b64 v[9:10], 3, v[71:72]
	v_mov_b32_e32 v74, v61
	v_add_co_u32_e64 v9, s[0:1], s12, v9
	v_addc_co_u32_e64 v10, s[0:1], v1, v10, s[0:1]
	global_load_dwordx2 v[9:10], v[9:10], off offset:1120
	v_lshlrev_b64 v[11:12], 3, v[73:74]
	v_mov_b32_e32 v69, v61
	v_add_co_u32_e64 v11, s[0:1], s12, v11
	v_addc_co_u32_e64 v12, s[0:1], v1, v12, s[0:1]
	global_load_dwordx2 v[11:12], v[11:12], off offset:1120
	v_lshlrev_b64 v[24:25], 3, v[68:69]
	ds_write_b32 v79, v8 offset:4
	ds_write_b64 v0, v[4:5] offset:1200
	v_mov_b32_e32 v8, s13
	v_add_co_u32_e64 v24, s[0:1], s12, v24
	v_addc_co_u32_e64 v25, s[0:1], v8, v25, s[0:1]
	ds_read_b64 v[4:5], v21
	ds_read_b64 v[22:23], v0 offset:1160
	global_load_dwordx2 v[24:25], v[24:25], off offset:1120
	v_lshl_add_u32 v1, v71, 3, v78
	v_mov_b32_e32 v71, v61
	v_lshlrev_b64 v[26:27], 3, v[70:71]
	s_waitcnt lgkmcnt(0)
	v_add_f32_e32 v8, v4, v22
	v_sub_f32_e32 v4, v4, v22
	v_add_f32_e32 v28, v5, v23
	v_sub_f32_e32 v5, v5, v23
	v_mul_f32_e32 v23, 0.5, v4
	v_mul_f32_e32 v22, 0.5, v28
	v_mul_f32_e32 v4, 0.5, v5
	v_mov_b32_e32 v13, s13
	v_mov_b32_e32 v68, v61
	s_add_u32 s4, s12, 0x460
	s_addc_u32 s5, s13, 0
	s_waitcnt vmcnt(3)
	v_mul_f32_e32 v28, v7, v23
	v_fma_f32 v5, v22, v7, v4
	v_fma_f32 v7, v22, v7, -v4
	v_fma_f32 v4, 0.5, v8, v28
	v_fma_f32 v5, -v6, v23, v5
	v_fma_f32 v8, v8, 0.5, -v28
	v_fmac_f32_e32 v4, v6, v22
	v_fma_f32 v7, -v6, v23, v7
	v_fma_f32 v6, -v6, v22, v8
	ds_write_b64 v21, v[4:5]
	ds_write_b64 v0, v[6:7] offset:1160
	v_add_co_u32_e64 v21, s[0:1], s12, v26
	ds_read_b64 v[4:5], v1
	ds_read_b64 v[6:7], v0 offset:1120
	v_addc_co_u32_e64 v22, s[0:1], v13, v27, s[0:1]
	global_load_dwordx2 v[21:22], v[21:22], off offset:1120
	s_waitcnt lgkmcnt(0)
	v_add_f32_e32 v8, v4, v6
	v_sub_f32_e32 v4, v4, v6
	v_add_f32_e32 v13, v5, v7
	v_sub_f32_e32 v5, v5, v7
	v_mul_f32_e32 v7, 0.5, v4
	v_mul_f32_e32 v6, 0.5, v13
	;; [unrolled: 1-line block ×3, first 2 shown]
	s_waitcnt vmcnt(3)
	v_mul_f32_e32 v13, v10, v7
	v_fma_f32 v5, v6, v10, v4
	v_fma_f32 v10, v6, v10, -v4
	v_fma_f32 v4, 0.5, v8, v13
	v_fma_f32 v5, -v9, v7, v5
	v_fma_f32 v8, v8, 0.5, -v13
	v_fmac_f32_e32 v4, v9, v6
	v_fma_f32 v7, -v9, v7, v10
	v_fma_f32 v6, -v9, v6, v8
	ds_write_b64 v1, v[4:5]
	ds_write_b64 v0, v[6:7] offset:1120
	ds_read_b64 v[4:5], v19
	ds_read_b64 v[6:7], v0 offset:1080
	v_lshlrev_b64 v[8:9], 3, v[67:68]
	v_mov_b32_e32 v1, s13
	v_add_co_u32_e64 v8, s[0:1], s12, v8
	s_waitcnt lgkmcnt(0)
	v_add_f32_e32 v10, v4, v6
	v_sub_f32_e32 v4, v4, v6
	v_add_f32_e32 v13, v5, v7
	v_sub_f32_e32 v5, v5, v7
	v_mul_f32_e32 v7, 0.5, v4
	v_mul_f32_e32 v6, 0.5, v13
	;; [unrolled: 1-line block ×3, first 2 shown]
	s_waitcnt vmcnt(2)
	v_mul_f32_e32 v13, v12, v7
	v_fma_f32 v5, v6, v12, v4
	v_fma_f32 v12, v6, v12, -v4
	v_fma_f32 v4, 0.5, v10, v13
	v_fma_f32 v5, -v11, v7, v5
	v_fma_f32 v10, v10, 0.5, -v13
	v_fmac_f32_e32 v4, v11, v6
	v_fma_f32 v7, -v11, v7, v12
	v_fma_f32 v6, -v11, v6, v10
	ds_write_b64 v19, v[4:5]
	ds_write_b64 v0, v[6:7] offset:1080
	v_addc_co_u32_e64 v9, s[0:1], v1, v9, s[0:1]
	ds_read_b64 v[4:5], v20
	ds_read_b64 v[6:7], v0 offset:1040
	global_load_dwordx2 v[8:9], v[8:9], off offset:1120
	v_mov_b32_e32 v67, v61
	s_waitcnt lgkmcnt(0)
	v_add_f32_e32 v1, v4, v6
	v_sub_f32_e32 v4, v4, v6
	v_add_f32_e32 v10, v5, v7
	v_sub_f32_e32 v5, v5, v7
	v_mul_f32_e32 v7, 0.5, v4
	v_mul_f32_e32 v6, 0.5, v10
	;; [unrolled: 1-line block ×3, first 2 shown]
	s_waitcnt vmcnt(2)
	v_mul_f32_e32 v11, v25, v7
	v_fma_f32 v4, 0.5, v1, v11
	v_fma_f32 v5, v6, v25, v10
	v_fmac_f32_e32 v4, v24, v6
	v_fma_f32 v5, -v24, v7, v5
	v_fma_f32 v1, v1, 0.5, -v11
	ds_write_b64 v20, v[4:5]
	v_fma_f32 v4, -v24, v6, v1
	v_fma_f32 v1, v6, v25, -v10
	v_fma_f32 v5, -v24, v7, v1
	ds_write_b64 v0, v[4:5] offset:1040
	v_lshlrev_b64 v[4:5], 3, v[66:67]
	v_mov_b32_e32 v1, s13
	v_add_co_u32_e64 v4, s[0:1], s12, v4
	v_addc_co_u32_e64 v5, s[0:1], v1, v5, s[0:1]
	global_load_dwordx2 v[4:5], v[4:5], off offset:1120
	ds_read_b64 v[6:7], v18
	ds_read_b64 v[10:11], v0 offset:1000
	v_mov_b32_e32 v66, v61
	s_waitcnt lgkmcnt(0)
	v_add_f32_e32 v1, v6, v10
	v_add_f32_e32 v12, v7, v11
	v_sub_f32_e32 v6, v6, v10
	v_sub_f32_e32 v7, v7, v11
	v_mul_f32_e32 v13, 0.5, v6
	v_mul_f32_e32 v19, 0.5, v7
	v_lshlrev_b64 v[6:7], 3, v[65:66]
	v_mul_f32_e32 v12, 0.5, v12
	v_mov_b32_e32 v10, s13
	v_add_co_u32_e64 v6, s[0:1], s12, v6
	s_waitcnt vmcnt(2)
	v_mul_f32_e32 v20, v22, v13
	v_addc_co_u32_e64 v7, s[0:1], v10, v7, s[0:1]
	v_fma_f32 v10, 0.5, v1, v20
	v_fma_f32 v11, v12, v22, v19
	v_fmac_f32_e32 v10, v21, v12
	v_fma_f32 v11, -v21, v13, v11
	v_fma_f32 v1, v1, 0.5, -v20
	global_load_dwordx2 v[6:7], v[6:7], off offset:1120
	ds_write_b64 v18, v[10:11]
	v_fma_f32 v10, -v21, v12, v1
	v_fma_f32 v1, v12, v22, -v19
	v_fma_f32 v11, -v21, v13, v1
	ds_write_b64 v0, v[10:11] offset:1000
	ds_read_b64 v[10:11], v16
	ds_read_b64 v[12:13], v0 offset:960
	v_mov_b32_e32 v65, v61
	v_mov_b32_e32 v21, s13
	s_waitcnt lgkmcnt(0)
	v_add_f32_e32 v18, v11, v13
	v_mul_f32_e32 v20, 0.5, v18
	v_lshlrev_b64 v[18:19], 3, v[64:65]
	v_add_f32_e32 v1, v10, v12
	v_add_co_u32_e64 v18, s[0:1], s12, v18
	v_addc_co_u32_e64 v19, s[0:1], v21, v19, s[0:1]
	global_load_dwordx2 v[18:19], v[18:19], off offset:1120
	v_sub_f32_e32 v10, v10, v12
	v_sub_f32_e32 v11, v11, v13
	v_mul_f32_e32 v12, 0.5, v10
	v_mul_f32_e32 v13, 0.5, v11
	s_waitcnt vmcnt(3)
	v_mul_f32_e32 v21, v9, v12
	v_fma_f32 v10, 0.5, v1, v21
	v_fma_f32 v11, v20, v9, v13
	v_fmac_f32_e32 v10, v8, v20
	v_fma_f32 v11, -v8, v12, v11
	v_fma_f32 v1, v1, 0.5, -v21
	ds_write_b64 v16, v[10:11]
	v_fma_f32 v10, -v8, v20, v1
	v_fma_f32 v1, v20, v9, -v13
	v_fma_f32 v11, -v8, v12, v1
	v_lshlrev_b64 v[1:2], 3, v[2:3]
	v_mov_b32_e32 v3, s5
	v_add_co_u32_e64 v1, s[0:1], s4, v1
	ds_write_b64 v0, v[10:11] offset:960
	v_addc_co_u32_e64 v2, s[0:1], v3, v2, s[0:1]
	ds_read_b64 v[8:9], v14
	ds_read_b64 v[10:11], v0 offset:920
	global_load_dwordx2 v[12:13], v[1:2], off offset:400
	s_waitcnt lgkmcnt(0)
	v_add_f32_e32 v3, v8, v10
	v_sub_f32_e32 v8, v8, v10
	v_add_f32_e32 v16, v9, v11
	v_sub_f32_e32 v9, v9, v11
	v_mul_f32_e32 v10, 0.5, v8
	v_mul_f32_e32 v16, 0.5, v16
	;; [unrolled: 1-line block ×3, first 2 shown]
	s_waitcnt vmcnt(3)
	v_mul_f32_e32 v20, v5, v10
	v_fma_f32 v8, 0.5, v3, v20
	v_fma_f32 v9, v16, v5, v11
	v_fma_f32 v3, v3, 0.5, -v20
	v_fma_f32 v5, v16, v5, -v11
	v_fmac_f32_e32 v8, v4, v16
	v_fma_f32 v9, -v4, v10, v9
	v_fma_f32 v3, -v4, v16, v3
	v_fma_f32 v4, -v4, v10, v5
	ds_write_b64 v14, v[8:9]
	ds_write_b64 v0, v[3:4] offset:920
	ds_read_b64 v[3:4], v17
	ds_read_b64 v[8:9], v0 offset:880
	global_load_dwordx2 v[10:11], v[1:2], off offset:440
	s_waitcnt lgkmcnt(0)
	v_add_f32_e32 v5, v3, v8
	v_sub_f32_e32 v3, v3, v8
	v_add_f32_e32 v14, v4, v9
	v_sub_f32_e32 v4, v4, v9
	v_mul_f32_e32 v8, 0.5, v3
	v_mul_f32_e32 v14, 0.5, v14
	;; [unrolled: 1-line block ×3, first 2 shown]
	s_waitcnt vmcnt(3)
	v_mul_f32_e32 v16, v7, v8
	v_fma_f32 v3, 0.5, v5, v16
	v_fma_f32 v4, v14, v7, v9
	v_fmac_f32_e32 v3, v6, v14
	v_fma_f32 v4, -v6, v8, v4
	ds_write_b64 v17, v[3:4]
	v_fma_f32 v3, v5, 0.5, -v16
	v_fma_f32 v4, v14, v7, -v9
	v_fma_f32 v3, -v6, v14, v3
	v_fma_f32 v4, -v6, v8, v4
	ds_write_b64 v0, v[3:4] offset:880
	ds_read_b64 v[3:4], v15
	ds_read_b64 v[5:6], v0 offset:840
	global_load_dwordx2 v[7:8], v[1:2], off offset:480
	s_waitcnt lgkmcnt(0)
	v_add_f32_e32 v9, v3, v5
	v_sub_f32_e32 v3, v3, v5
	v_add_f32_e32 v14, v4, v6
	v_sub_f32_e32 v4, v4, v6
	v_mul_f32_e32 v5, 0.5, v3
	v_mul_f32_e32 v14, 0.5, v14
	;; [unrolled: 1-line block ×3, first 2 shown]
	s_waitcnt vmcnt(3)
	v_mul_f32_e32 v16, v19, v5
	v_fma_f32 v3, 0.5, v9, v16
	v_fma_f32 v4, v14, v19, v6
	v_fmac_f32_e32 v3, v18, v14
	v_fma_f32 v4, -v18, v5, v4
	ds_write_b64 v15, v[3:4]
	v_fma_f32 v3, v9, 0.5, -v16
	v_fma_f32 v4, v14, v19, -v6
	v_fma_f32 v3, -v18, v14, v3
	v_fma_f32 v4, -v18, v5, v4
	ds_write_b64 v0, v[3:4] offset:840
	ds_read_b64 v[3:4], v79 offset:400
	ds_read_b64 v[5:6], v0 offset:800
	global_load_dwordx2 v[14:15], v[1:2], off offset:520
	s_waitcnt lgkmcnt(0)
	v_add_f32_e32 v9, v3, v5
	v_sub_f32_e32 v3, v3, v5
	v_add_f32_e32 v16, v4, v6
	v_sub_f32_e32 v4, v4, v6
	v_mul_f32_e32 v5, 0.5, v3
	v_mul_f32_e32 v16, 0.5, v16
	;; [unrolled: 1-line block ×3, first 2 shown]
	s_waitcnt vmcnt(3)
	v_mul_f32_e32 v17, v13, v5
	v_fma_f32 v3, 0.5, v9, v17
	v_fma_f32 v4, v16, v13, v6
	v_fmac_f32_e32 v3, v12, v16
	v_fma_f32 v4, -v12, v5, v4
	ds_write_b64 v79, v[3:4] offset:400
	v_fma_f32 v3, v9, 0.5, -v17
	v_fma_f32 v4, v16, v13, -v6
	v_fma_f32 v3, -v12, v16, v3
	v_fma_f32 v4, -v12, v5, v4
	ds_write_b64 v0, v[3:4] offset:800
	ds_read_b64 v[3:4], v79 offset:440
	ds_read_b64 v[5:6], v0 offset:760
	global_load_dwordx2 v[1:2], v[1:2], off offset:560
	s_waitcnt lgkmcnt(0)
	v_add_f32_e32 v9, v3, v5
	v_sub_f32_e32 v3, v3, v5
	v_add_f32_e32 v12, v4, v6
	v_sub_f32_e32 v4, v4, v6
	v_mul_f32_e32 v5, 0.5, v3
	v_mul_f32_e32 v12, 0.5, v12
	v_mul_f32_e32 v6, 0.5, v4
	s_waitcnt vmcnt(3)
	v_mul_f32_e32 v13, v11, v5
	v_fma_f32 v3, 0.5, v9, v13
	v_fma_f32 v4, v12, v11, v6
	v_fmac_f32_e32 v3, v10, v12
	v_fma_f32 v4, -v10, v5, v4
	ds_write_b64 v79, v[3:4] offset:440
	v_fma_f32 v3, v9, 0.5, -v13
	v_fma_f32 v4, v12, v11, -v6
	v_fma_f32 v3, -v10, v12, v3
	v_fma_f32 v4, -v10, v5, v4
	ds_write_b64 v0, v[3:4] offset:760
	ds_read_b64 v[3:4], v79 offset:480
	ds_read_b64 v[5:6], v0 offset:720
	s_waitcnt lgkmcnt(0)
	v_add_f32_e32 v9, v3, v5
	v_sub_f32_e32 v3, v3, v5
	v_add_f32_e32 v10, v4, v6
	v_sub_f32_e32 v4, v4, v6
	v_mul_f32_e32 v5, 0.5, v3
	v_mul_f32_e32 v10, 0.5, v10
	v_mul_f32_e32 v6, 0.5, v4
	s_waitcnt vmcnt(2)
	v_mul_f32_e32 v11, v8, v5
	v_fma_f32 v3, 0.5, v9, v11
	v_fma_f32 v4, v10, v8, v6
	v_fmac_f32_e32 v3, v7, v10
	v_fma_f32 v4, -v7, v5, v4
	ds_write_b64 v79, v[3:4] offset:480
	v_fma_f32 v3, v9, 0.5, -v11
	v_fma_f32 v4, v10, v8, -v6
	v_fma_f32 v3, -v7, v10, v3
	v_fma_f32 v4, -v7, v5, v4
	ds_write_b64 v0, v[3:4] offset:720
	ds_read_b64 v[3:4], v79 offset:520
	ds_read_b64 v[5:6], v0 offset:680
	;; [unrolled: 22-line block ×3, first 2 shown]
	s_waitcnt lgkmcnt(0)
	v_add_f32_e32 v7, v3, v5
	v_sub_f32_e32 v3, v3, v5
	v_add_f32_e32 v8, v4, v6
	v_sub_f32_e32 v4, v4, v6
	v_mul_f32_e32 v5, 0.5, v3
	v_mul_f32_e32 v8, 0.5, v8
	;; [unrolled: 1-line block ×3, first 2 shown]
	s_waitcnt vmcnt(0)
	v_mul_f32_e32 v9, v2, v5
	v_fma_f32 v3, 0.5, v7, v9
	v_fma_f32 v4, v8, v2, v6
	v_fmac_f32_e32 v3, v1, v8
	v_fma_f32 v4, -v1, v5, v4
	ds_write_b64 v79, v[3:4] offset:560
	v_fma_f32 v3, v7, 0.5, -v9
	v_fma_f32 v2, v8, v2, -v6
	v_fma_f32 v3, -v1, v8, v3
	v_fma_f32 v4, -v1, v5, v2
	ds_write_b64 v0, v[3:4] offset:640
	s_waitcnt lgkmcnt(0)
	; wave barrier
	s_waitcnt lgkmcnt(0)
	s_and_saveexec_b64 s[0:1], vcc
	s_cbranch_execz .LBB0_19
; %bb.17:
	v_mul_lo_u32 v2, s3, v62
	v_mul_lo_u32 v3, s2, v63
	v_mad_u64_u32 v[0:1], s[0:1], s2, v62, 0
	v_mov_b32_e32 v59, v61
	v_lshlrev_b64 v[7:8], 3, v[58:59]
	v_add3_u32 v1, v1, v3, v2
	v_lshlrev_b64 v[0:1], 3, v[0:1]
	v_mov_b32_e32 v3, s11
	v_add_co_u32_e32 v4, vcc, s10, v0
	v_addc_co_u32_e32 v3, vcc, v3, v1, vcc
	v_lshlrev_b64 v[0:1], 3, v[56:57]
	v_lshl_add_u32 v2, v58, 3, v78
	v_add_co_u32_e32 v0, vcc, v4, v0
	v_addc_co_u32_e32 v1, vcc, v3, v1, vcc
	ds_read2_b64 v[3:6], v2 offset1:5
	v_add_co_u32_e32 v7, vcc, v0, v7
	v_addc_co_u32_e32 v8, vcc, v1, v8, vcc
	v_add_u32_e32 v60, 5, v58
	s_waitcnt lgkmcnt(0)
	global_store_dwordx2 v[7:8], v[3:4], off
	v_lshlrev_b64 v[3:4], 3, v[60:61]
	v_add_u32_e32 v60, 10, v58
	v_add_co_u32_e32 v3, vcc, v0, v3
	v_addc_co_u32_e32 v4, vcc, v1, v4, vcc
	global_store_dwordx2 v[3:4], v[5:6], off
	ds_read2_b64 v[3:6], v2 offset0:10 offset1:15
	v_lshlrev_b64 v[7:8], 3, v[60:61]
	v_add_u32_e32 v60, 15, v58
	v_add_co_u32_e32 v7, vcc, v0, v7
	v_addc_co_u32_e32 v8, vcc, v1, v8, vcc
	s_waitcnt lgkmcnt(0)
	global_store_dwordx2 v[7:8], v[3:4], off
	v_lshlrev_b64 v[3:4], 3, v[60:61]
	v_add_u32_e32 v60, 20, v58
	v_add_co_u32_e32 v3, vcc, v0, v3
	v_addc_co_u32_e32 v4, vcc, v1, v4, vcc
	global_store_dwordx2 v[3:4], v[5:6], off
	ds_read2_b64 v[3:6], v2 offset0:20 offset1:25
	v_lshlrev_b64 v[7:8], 3, v[60:61]
	v_add_u32_e32 v60, 25, v58
	v_add_co_u32_e32 v7, vcc, v0, v7
	v_addc_co_u32_e32 v8, vcc, v1, v8, vcc
	;; [unrolled: 12-line block ×4, first 2 shown]
	s_waitcnt lgkmcnt(0)
	global_store_dwordx2 v[7:8], v[3:4], off
	v_lshlrev_b64 v[3:4], 3, v[60:61]
	ds_read2_b64 v[7:10], v2 offset0:50 offset1:55
	v_add_co_u32_e32 v3, vcc, v0, v3
	v_addc_co_u32_e32 v4, vcc, v1, v4, vcc
	v_add_u32_e32 v60, 50, v58
	global_store_dwordx2 v[3:4], v[5:6], off
	v_lshlrev_b64 v[3:4], 3, v[60:61]
	v_add_u32_e32 v60, 55, v58
	v_add_co_u32_e32 v3, vcc, v0, v3
	v_addc_co_u32_e32 v4, vcc, v1, v4, vcc
	s_waitcnt lgkmcnt(0)
	global_store_dwordx2 v[3:4], v[7:8], off
	v_lshlrev_b64 v[3:4], 3, v[60:61]
	v_add_u32_e32 v60, 60, v58
	v_add_co_u32_e32 v3, vcc, v0, v3
	v_addc_co_u32_e32 v4, vcc, v1, v4, vcc
	global_store_dwordx2 v[3:4], v[9:10], off
	ds_read2_b64 v[3:6], v2 offset0:60 offset1:65
	v_lshlrev_b64 v[7:8], 3, v[60:61]
	v_add_u32_e32 v60, 0x41, v58
	v_add_co_u32_e32 v7, vcc, v0, v7
	v_addc_co_u32_e32 v8, vcc, v1, v8, vcc
	s_waitcnt lgkmcnt(0)
	global_store_dwordx2 v[7:8], v[3:4], off
	v_lshlrev_b64 v[3:4], 3, v[60:61]
	v_add_u32_e32 v60, 0x46, v58
	v_add_co_u32_e32 v3, vcc, v0, v3
	v_addc_co_u32_e32 v4, vcc, v1, v4, vcc
	global_store_dwordx2 v[3:4], v[5:6], off
	ds_read2_b64 v[3:6], v2 offset0:70 offset1:75
	;; [unrolled: 12-line block ×9, first 2 shown]
	v_lshlrev_b64 v[7:8], 3, v[60:61]
	v_add_u32_e32 v60, 0x91, v58
	v_add_co_u32_e32 v7, vcc, v0, v7
	v_addc_co_u32_e32 v8, vcc, v1, v8, vcc
	s_waitcnt lgkmcnt(0)
	global_store_dwordx2 v[7:8], v[3:4], off
	v_lshlrev_b64 v[3:4], 3, v[60:61]
	v_add_co_u32_e32 v3, vcc, v0, v3
	v_addc_co_u32_e32 v4, vcc, v1, v4, vcc
	v_cmp_eq_u32_e32 vcc, 4, v58
	global_store_dwordx2 v[3:4], v[5:6], off
	s_and_b64 exec, exec, vcc
	s_cbranch_execz .LBB0_19
; %bb.18:
	ds_read_b64 v[2:3], v2 offset:1168
	s_waitcnt lgkmcnt(0)
	global_store_dwordx2 v[0:1], v[2:3], off offset:1200
.LBB0_19:
	s_endpgm
	.section	.rodata,"a",@progbits
	.p2align	6, 0x0
	.amdhsa_kernel fft_rtc_back_len150_factors_10_5_3_wgs_60_tpt_5_halfLds_sp_op_CI_CI_unitstride_sbrr_R2C_dirReg
		.amdhsa_group_segment_fixed_size 0
		.amdhsa_private_segment_fixed_size 0
		.amdhsa_kernarg_size 104
		.amdhsa_user_sgpr_count 6
		.amdhsa_user_sgpr_private_segment_buffer 1
		.amdhsa_user_sgpr_dispatch_ptr 0
		.amdhsa_user_sgpr_queue_ptr 0
		.amdhsa_user_sgpr_kernarg_segment_ptr 1
		.amdhsa_user_sgpr_dispatch_id 0
		.amdhsa_user_sgpr_flat_scratch_init 0
		.amdhsa_user_sgpr_private_segment_size 0
		.amdhsa_uses_dynamic_stack 0
		.amdhsa_system_sgpr_private_segment_wavefront_offset 0
		.amdhsa_system_sgpr_workgroup_id_x 1
		.amdhsa_system_sgpr_workgroup_id_y 0
		.amdhsa_system_sgpr_workgroup_id_z 0
		.amdhsa_system_sgpr_workgroup_info 0
		.amdhsa_system_vgpr_workitem_id 0
		.amdhsa_next_free_vgpr 108
		.amdhsa_next_free_sgpr 28
		.amdhsa_reserve_vcc 1
		.amdhsa_reserve_flat_scratch 0
		.amdhsa_float_round_mode_32 0
		.amdhsa_float_round_mode_16_64 0
		.amdhsa_float_denorm_mode_32 3
		.amdhsa_float_denorm_mode_16_64 3
		.amdhsa_dx10_clamp 1
		.amdhsa_ieee_mode 1
		.amdhsa_fp16_overflow 0
		.amdhsa_exception_fp_ieee_invalid_op 0
		.amdhsa_exception_fp_denorm_src 0
		.amdhsa_exception_fp_ieee_div_zero 0
		.amdhsa_exception_fp_ieee_overflow 0
		.amdhsa_exception_fp_ieee_underflow 0
		.amdhsa_exception_fp_ieee_inexact 0
		.amdhsa_exception_int_div_zero 0
	.end_amdhsa_kernel
	.text
.Lfunc_end0:
	.size	fft_rtc_back_len150_factors_10_5_3_wgs_60_tpt_5_halfLds_sp_op_CI_CI_unitstride_sbrr_R2C_dirReg, .Lfunc_end0-fft_rtc_back_len150_factors_10_5_3_wgs_60_tpt_5_halfLds_sp_op_CI_CI_unitstride_sbrr_R2C_dirReg
                                        ; -- End function
	.section	.AMDGPU.csdata,"",@progbits
; Kernel info:
; codeLenInByte = 14032
; NumSgprs: 32
; NumVgprs: 108
; ScratchSize: 0
; MemoryBound: 0
; FloatMode: 240
; IeeeMode: 1
; LDSByteSize: 0 bytes/workgroup (compile time only)
; SGPRBlocks: 3
; VGPRBlocks: 26
; NumSGPRsForWavesPerEU: 32
; NumVGPRsForWavesPerEU: 108
; Occupancy: 2
; WaveLimiterHint : 1
; COMPUTE_PGM_RSRC2:SCRATCH_EN: 0
; COMPUTE_PGM_RSRC2:USER_SGPR: 6
; COMPUTE_PGM_RSRC2:TRAP_HANDLER: 0
; COMPUTE_PGM_RSRC2:TGID_X_EN: 1
; COMPUTE_PGM_RSRC2:TGID_Y_EN: 0
; COMPUTE_PGM_RSRC2:TGID_Z_EN: 0
; COMPUTE_PGM_RSRC2:TIDIG_COMP_CNT: 0
	.type	__hip_cuid_4aa9b41b01d386de,@object ; @__hip_cuid_4aa9b41b01d386de
	.section	.bss,"aw",@nobits
	.globl	__hip_cuid_4aa9b41b01d386de
__hip_cuid_4aa9b41b01d386de:
	.byte	0                               ; 0x0
	.size	__hip_cuid_4aa9b41b01d386de, 1

	.ident	"AMD clang version 19.0.0git (https://github.com/RadeonOpenCompute/llvm-project roc-6.4.0 25133 c7fe45cf4b819c5991fe208aaa96edf142730f1d)"
	.section	".note.GNU-stack","",@progbits
	.addrsig
	.addrsig_sym __hip_cuid_4aa9b41b01d386de
	.amdgpu_metadata
---
amdhsa.kernels:
  - .args:
      - .actual_access:  read_only
        .address_space:  global
        .offset:         0
        .size:           8
        .value_kind:     global_buffer
      - .offset:         8
        .size:           8
        .value_kind:     by_value
      - .actual_access:  read_only
        .address_space:  global
        .offset:         16
        .size:           8
        .value_kind:     global_buffer
      - .actual_access:  read_only
        .address_space:  global
        .offset:         24
        .size:           8
        .value_kind:     global_buffer
      - .actual_access:  read_only
        .address_space:  global
        .offset:         32
        .size:           8
        .value_kind:     global_buffer
      - .offset:         40
        .size:           8
        .value_kind:     by_value
      - .actual_access:  read_only
        .address_space:  global
        .offset:         48
        .size:           8
        .value_kind:     global_buffer
      - .actual_access:  read_only
        .address_space:  global
        .offset:         56
        .size:           8
        .value_kind:     global_buffer
      - .offset:         64
        .size:           4
        .value_kind:     by_value
      - .actual_access:  read_only
        .address_space:  global
        .offset:         72
        .size:           8
        .value_kind:     global_buffer
      - .actual_access:  read_only
        .address_space:  global
        .offset:         80
        .size:           8
        .value_kind:     global_buffer
      - .actual_access:  read_only
        .address_space:  global
        .offset:         88
        .size:           8
        .value_kind:     global_buffer
      - .actual_access:  write_only
        .address_space:  global
        .offset:         96
        .size:           8
        .value_kind:     global_buffer
    .group_segment_fixed_size: 0
    .kernarg_segment_align: 8
    .kernarg_segment_size: 104
    .language:       OpenCL C
    .language_version:
      - 2
      - 0
    .max_flat_workgroup_size: 60
    .name:           fft_rtc_back_len150_factors_10_5_3_wgs_60_tpt_5_halfLds_sp_op_CI_CI_unitstride_sbrr_R2C_dirReg
    .private_segment_fixed_size: 0
    .sgpr_count:     32
    .sgpr_spill_count: 0
    .symbol:         fft_rtc_back_len150_factors_10_5_3_wgs_60_tpt_5_halfLds_sp_op_CI_CI_unitstride_sbrr_R2C_dirReg.kd
    .uniform_work_group_size: 1
    .uses_dynamic_stack: false
    .vgpr_count:     108
    .vgpr_spill_count: 0
    .wavefront_size: 64
amdhsa.target:   amdgcn-amd-amdhsa--gfx906
amdhsa.version:
  - 1
  - 2
...

	.end_amdgpu_metadata
